;; amdgpu-corpus repo=ROCm/rocFFT kind=compiled arch=gfx1030 opt=O3
	.text
	.amdgcn_target "amdgcn-amd-amdhsa--gfx1030"
	.amdhsa_code_object_version 6
	.protected	fft_rtc_back_len884_factors_13_4_17_wgs_204_tpt_68_halfLds_half_op_CI_CI_unitstride_sbrr_R2C_dirReg ; -- Begin function fft_rtc_back_len884_factors_13_4_17_wgs_204_tpt_68_halfLds_half_op_CI_CI_unitstride_sbrr_R2C_dirReg
	.globl	fft_rtc_back_len884_factors_13_4_17_wgs_204_tpt_68_halfLds_half_op_CI_CI_unitstride_sbrr_R2C_dirReg
	.p2align	8
	.type	fft_rtc_back_len884_factors_13_4_17_wgs_204_tpt_68_halfLds_half_op_CI_CI_unitstride_sbrr_R2C_dirReg,@function
fft_rtc_back_len884_factors_13_4_17_wgs_204_tpt_68_halfLds_half_op_CI_CI_unitstride_sbrr_R2C_dirReg: ; @fft_rtc_back_len884_factors_13_4_17_wgs_204_tpt_68_halfLds_half_op_CI_CI_unitstride_sbrr_R2C_dirReg
; %bb.0:
	s_load_dwordx4 s[12:15], s[4:5], 0x0
	v_mul_u32_u24_e32 v1, 0x3c4, v0
	s_clause 0x1
	s_load_dwordx4 s[8:11], s[4:5], 0x58
	s_load_dwordx4 s[16:19], s[4:5], 0x18
	v_mov_b32_e32 v7, 0
	v_mov_b32_e32 v11, 0
	;; [unrolled: 1-line block ×3, first 2 shown]
	v_lshrrev_b32_e32 v1, 16, v1
	v_mad_u64_u32 v[3:4], null, s6, 3, v[1:2]
	v_mov_b32_e32 v4, v7
	v_mov_b32_e32 v1, v11
	;; [unrolled: 1-line block ×5, first 2 shown]
	s_waitcnt lgkmcnt(0)
	v_cmp_lt_u64_e64 s0, s[14:15], 2
	s_and_b32 vcc_lo, exec_lo, s0
	s_cbranch_vccnz .LBB0_8
; %bb.1:
	s_load_dwordx2 s[0:1], s[4:5], 0x10
	v_mov_b32_e32 v11, 0
	v_mov_b32_e32 v12, 0
	s_add_u32 s2, s18, 8
	v_mov_b32_e32 v10, v4
	s_addc_u32 s3, s19, 0
	v_mov_b32_e32 v1, v11
	v_mov_b32_e32 v9, v3
	s_add_u32 s6, s16, 8
	v_mov_b32_e32 v2, v12
	s_addc_u32 s7, s17, 0
	s_mov_b64 s[22:23], 1
	s_waitcnt lgkmcnt(0)
	s_add_u32 s20, s0, 8
	s_addc_u32 s21, s1, 0
.LBB0_2:                                ; =>This Inner Loop Header: Depth=1
	s_load_dwordx2 s[24:25], s[20:21], 0x0
                                        ; implicit-def: $vgpr5_vgpr6
	s_mov_b32 s0, exec_lo
	s_waitcnt lgkmcnt(0)
	v_or_b32_e32 v8, s25, v10
	v_cmpx_ne_u64_e32 0, v[7:8]
	s_xor_b32 s1, exec_lo, s0
	s_cbranch_execz .LBB0_4
; %bb.3:                                ;   in Loop: Header=BB0_2 Depth=1
	v_cvt_f32_u32_e32 v4, s24
	v_cvt_f32_u32_e32 v5, s25
	s_sub_u32 s0, 0, s24
	s_subb_u32 s26, 0, s25
	v_fmac_f32_e32 v4, 0x4f800000, v5
	v_rcp_f32_e32 v4, v4
	v_mul_f32_e32 v4, 0x5f7ffffc, v4
	v_mul_f32_e32 v5, 0x2f800000, v4
	v_trunc_f32_e32 v5, v5
	v_fmac_f32_e32 v4, 0xcf800000, v5
	v_cvt_u32_f32_e32 v5, v5
	v_cvt_u32_f32_e32 v4, v4
	v_mul_lo_u32 v6, s0, v5
	v_mul_hi_u32 v8, s0, v4
	v_mul_lo_u32 v13, s26, v4
	v_add_nc_u32_e32 v6, v8, v6
	v_mul_lo_u32 v8, s0, v4
	v_add_nc_u32_e32 v6, v6, v13
	v_mul_hi_u32 v13, v4, v8
	v_mul_lo_u32 v14, v4, v6
	v_mul_hi_u32 v15, v4, v6
	v_mul_hi_u32 v16, v5, v8
	v_mul_lo_u32 v8, v5, v8
	v_mul_hi_u32 v17, v5, v6
	v_mul_lo_u32 v6, v5, v6
	v_add_co_u32 v13, vcc_lo, v13, v14
	v_add_co_ci_u32_e32 v14, vcc_lo, 0, v15, vcc_lo
	v_add_co_u32 v8, vcc_lo, v13, v8
	v_add_co_ci_u32_e32 v8, vcc_lo, v14, v16, vcc_lo
	v_add_co_ci_u32_e32 v13, vcc_lo, 0, v17, vcc_lo
	v_add_co_u32 v6, vcc_lo, v8, v6
	v_add_co_ci_u32_e32 v8, vcc_lo, 0, v13, vcc_lo
	v_add_co_u32 v4, vcc_lo, v4, v6
	v_add_co_ci_u32_e32 v5, vcc_lo, v5, v8, vcc_lo
	v_mul_hi_u32 v6, s0, v4
	v_mul_lo_u32 v13, s26, v4
	v_mul_lo_u32 v8, s0, v5
	v_add_nc_u32_e32 v6, v6, v8
	v_mul_lo_u32 v8, s0, v4
	v_add_nc_u32_e32 v6, v6, v13
	v_mul_hi_u32 v13, v4, v8
	v_mul_lo_u32 v14, v4, v6
	v_mul_hi_u32 v15, v4, v6
	v_mul_hi_u32 v16, v5, v8
	v_mul_lo_u32 v8, v5, v8
	v_mul_hi_u32 v17, v5, v6
	v_mul_lo_u32 v6, v5, v6
	v_add_co_u32 v13, vcc_lo, v13, v14
	v_add_co_ci_u32_e32 v14, vcc_lo, 0, v15, vcc_lo
	v_add_co_u32 v8, vcc_lo, v13, v8
	v_add_co_ci_u32_e32 v8, vcc_lo, v14, v16, vcc_lo
	v_add_co_ci_u32_e32 v13, vcc_lo, 0, v17, vcc_lo
	v_add_co_u32 v6, vcc_lo, v8, v6
	v_add_co_ci_u32_e32 v8, vcc_lo, 0, v13, vcc_lo
	v_add_co_u32 v6, vcc_lo, v4, v6
	v_add_co_ci_u32_e32 v8, vcc_lo, v5, v8, vcc_lo
	v_mul_hi_u32 v17, v9, v6
	v_mad_u64_u32 v[13:14], null, v10, v6, 0
	v_mad_u64_u32 v[4:5], null, v9, v8, 0
	;; [unrolled: 1-line block ×3, first 2 shown]
	v_add_co_u32 v4, vcc_lo, v17, v4
	v_add_co_ci_u32_e32 v5, vcc_lo, 0, v5, vcc_lo
	v_add_co_u32 v4, vcc_lo, v4, v13
	v_add_co_ci_u32_e32 v4, vcc_lo, v5, v14, vcc_lo
	v_add_co_ci_u32_e32 v5, vcc_lo, 0, v16, vcc_lo
	v_add_co_u32 v8, vcc_lo, v4, v15
	v_add_co_ci_u32_e32 v6, vcc_lo, 0, v5, vcc_lo
	v_mul_lo_u32 v13, s25, v8
	v_mad_u64_u32 v[4:5], null, s24, v8, 0
	v_mul_lo_u32 v14, s24, v6
	v_sub_co_u32 v4, vcc_lo, v9, v4
	v_add3_u32 v5, v5, v14, v13
	v_sub_nc_u32_e32 v13, v10, v5
	v_subrev_co_ci_u32_e64 v13, s0, s25, v13, vcc_lo
	v_add_co_u32 v14, s0, v8, 2
	v_add_co_ci_u32_e64 v15, s0, 0, v6, s0
	v_sub_co_u32 v16, s0, v4, s24
	v_sub_co_ci_u32_e32 v5, vcc_lo, v10, v5, vcc_lo
	v_subrev_co_ci_u32_e64 v13, s0, 0, v13, s0
	v_cmp_le_u32_e32 vcc_lo, s24, v16
	v_cmp_eq_u32_e64 s0, s25, v5
	v_cndmask_b32_e64 v16, 0, -1, vcc_lo
	v_cmp_le_u32_e32 vcc_lo, s25, v13
	v_cndmask_b32_e64 v17, 0, -1, vcc_lo
	v_cmp_le_u32_e32 vcc_lo, s24, v4
	;; [unrolled: 2-line block ×3, first 2 shown]
	v_cndmask_b32_e64 v18, 0, -1, vcc_lo
	v_cmp_eq_u32_e32 vcc_lo, s25, v13
	v_cndmask_b32_e64 v4, v18, v4, s0
	v_cndmask_b32_e32 v13, v17, v16, vcc_lo
	v_add_co_u32 v16, vcc_lo, v8, 1
	v_add_co_ci_u32_e32 v17, vcc_lo, 0, v6, vcc_lo
	v_cmp_ne_u32_e32 vcc_lo, 0, v13
	v_cndmask_b32_e32 v5, v17, v15, vcc_lo
	v_cndmask_b32_e32 v13, v16, v14, vcc_lo
	v_cmp_ne_u32_e32 vcc_lo, 0, v4
	v_cndmask_b32_e32 v6, v6, v5, vcc_lo
	v_cndmask_b32_e32 v5, v8, v13, vcc_lo
.LBB0_4:                                ;   in Loop: Header=BB0_2 Depth=1
	s_andn2_saveexec_b32 s0, s1
	s_cbranch_execz .LBB0_6
; %bb.5:                                ;   in Loop: Header=BB0_2 Depth=1
	v_cvt_f32_u32_e32 v4, s24
	s_sub_i32 s1, 0, s24
	v_rcp_iflag_f32_e32 v4, v4
	v_mul_f32_e32 v4, 0x4f7ffffe, v4
	v_cvt_u32_f32_e32 v4, v4
	v_mul_lo_u32 v5, s1, v4
	v_mul_hi_u32 v5, v4, v5
	v_add_nc_u32_e32 v4, v4, v5
	v_mul_hi_u32 v4, v9, v4
	v_mul_lo_u32 v5, v4, s24
	v_add_nc_u32_e32 v6, 1, v4
	v_sub_nc_u32_e32 v5, v9, v5
	v_subrev_nc_u32_e32 v8, s24, v5
	v_cmp_le_u32_e32 vcc_lo, s24, v5
	v_cndmask_b32_e32 v5, v5, v8, vcc_lo
	v_cndmask_b32_e32 v4, v4, v6, vcc_lo
	v_cmp_le_u32_e32 vcc_lo, s24, v5
	v_add_nc_u32_e32 v6, 1, v4
	v_cndmask_b32_e32 v5, v4, v6, vcc_lo
	v_mov_b32_e32 v6, v7
.LBB0_6:                                ;   in Loop: Header=BB0_2 Depth=1
	s_or_b32 exec_lo, exec_lo, s0
	v_mul_lo_u32 v4, v6, s24
	v_mul_lo_u32 v8, v5, s25
	s_load_dwordx2 s[0:1], s[6:7], 0x0
	v_mad_u64_u32 v[13:14], null, v5, s24, 0
	s_load_dwordx2 s[24:25], s[2:3], 0x0
	s_add_u32 s22, s22, 1
	s_addc_u32 s23, s23, 0
	s_add_u32 s2, s2, 8
	s_addc_u32 s3, s3, 0
	s_add_u32 s6, s6, 8
	v_add3_u32 v4, v14, v8, v4
	v_sub_co_u32 v8, vcc_lo, v9, v13
	s_addc_u32 s7, s7, 0
	s_add_u32 s20, s20, 8
	v_sub_co_ci_u32_e32 v4, vcc_lo, v10, v4, vcc_lo
	s_addc_u32 s21, s21, 0
	s_waitcnt lgkmcnt(0)
	v_mul_lo_u32 v9, s0, v4
	v_mul_lo_u32 v10, s1, v8
	v_mad_u64_u32 v[11:12], null, s0, v8, v[11:12]
	v_mul_lo_u32 v4, s24, v4
	v_mul_lo_u32 v13, s25, v8
	v_mad_u64_u32 v[1:2], null, s24, v8, v[1:2]
	v_cmp_ge_u64_e64 s0, s[22:23], s[14:15]
	v_add3_u32 v12, v10, v12, v9
	v_add3_u32 v2, v13, v2, v4
	s_and_b32 vcc_lo, exec_lo, s0
	s_cbranch_vccnz .LBB0_8
; %bb.7:                                ;   in Loop: Header=BB0_2 Depth=1
	v_mov_b32_e32 v10, v6
	v_mov_b32_e32 v9, v5
	s_branch .LBB0_2
.LBB0_8:
	s_load_dwordx2 s[0:1], s[4:5], 0x28
	v_mul_hi_u32 v4, 0xaaaaaaab, v3
	s_lshl_b64 s[4:5], s[14:15], 3
                                        ; implicit-def: $vgpr8
                                        ; implicit-def: $vgpr10
	s_add_u32 s2, s18, s4
	s_addc_u32 s3, s19, s5
	v_lshrrev_b32_e32 v4, 1, v4
	v_lshl_add_u32 v7, v4, 1, v4
	v_mul_hi_u32 v4, 0x3c3c3c4, v0
	v_sub_nc_u32_e32 v9, v3, v7
	s_waitcnt lgkmcnt(0)
	v_cmp_gt_u64_e32 vcc_lo, s[0:1], v[5:6]
	v_cmp_le_u64_e64 s0, s[0:1], v[5:6]
                                        ; implicit-def: $vgpr3
                                        ; implicit-def: $vgpr7
	s_and_saveexec_b32 s1, s0
	s_xor_b32 s0, exec_lo, s1
; %bb.9:
	v_mul_u32_u24_e32 v3, 0x44, v4
                                        ; implicit-def: $vgpr4
                                        ; implicit-def: $vgpr11_vgpr12
	v_sub_nc_u32_e32 v3, v0, v3
                                        ; implicit-def: $vgpr0
	v_add_nc_u32_e32 v8, 0x44, v3
	v_add_nc_u32_e32 v10, 0x88, v3
	;; [unrolled: 1-line block ×3, first 2 shown]
; %bb.10:
	s_or_saveexec_b32 s1, s0
	v_mul_u32_u24_e32 v9, 0x375, v9
	v_lshlrev_b32_e32 v24, 2, v9
	s_xor_b32 exec_lo, exec_lo, s1
	s_cbranch_execz .LBB0_12
; %bb.11:
	s_add_u32 s4, s16, s4
	s_addc_u32 s5, s17, s5
	s_load_dwordx2 s[4:5], s[4:5], 0x0
	s_waitcnt lgkmcnt(0)
	v_mul_lo_u32 v3, s5, v5
	v_mul_lo_u32 v9, s4, v6
	v_mad_u64_u32 v[7:8], null, s4, v5, 0
	v_add3_u32 v8, v8, v9, v3
	v_mul_u32_u24_e32 v3, 0x44, v4
	v_lshlrev_b64 v[9:10], 2, v[11:12]
	v_lshlrev_b64 v[7:8], 2, v[7:8]
	v_sub_nc_u32_e32 v3, v0, v3
	v_lshlrev_b32_e32 v11, 2, v3
	v_add_co_u32 v0, s0, s8, v7
	v_add_co_ci_u32_e64 v4, s0, s9, v8, s0
	v_add_co_u32 v0, s0, v0, v9
	v_add_co_ci_u32_e64 v4, s0, v4, v10, s0
	;; [unrolled: 2-line block ×3, first 2 shown]
	v_add3_u32 v11, 0, v24, v11
	v_add_co_u32 v9, s0, 0x800, v7
	v_add_co_ci_u32_e64 v10, s0, 0, v8, s0
	s_clause 0xc
	global_load_dword v0, v[7:8], off
	global_load_dword v4, v[7:8], off offset:272
	global_load_dword v12, v[7:8], off offset:544
	;; [unrolled: 1-line block ×12, first 2 shown]
	v_add_nc_u32_e32 v8, 0x44, v3
	v_add_nc_u32_e32 v10, 0x88, v3
	;; [unrolled: 1-line block ×5, first 2 shown]
	s_waitcnt vmcnt(11)
	ds_write2_b32 v11, v0, v4 offset1:68
	s_waitcnt vmcnt(9)
	ds_write2_b32 v11, v12, v13 offset0:136 offset1:204
	s_waitcnt vmcnt(7)
	ds_write2_b32 v22, v14, v15 offset0:16 offset1:84
	;; [unrolled: 2-line block ×5, first 2 shown]
	s_waitcnt vmcnt(0)
	ds_write_b32 v11, v9 offset:3264
.LBB0_12:
	s_or_b32 exec_lo, exec_lo, s1
	v_add_nc_u32_e32 v0, 0, v24
	v_lshlrev_b32_e32 v4, 2, v3
	s_load_dwordx2 s[2:3], s[2:3], 0x0
	s_waitcnt lgkmcnt(0)
	s_barrier
	buffer_gl0_inv
	v_add_nc_u32_e32 v27, v0, v4
	v_add3_u32 v9, 0, v4, v24
	v_mov_b32_e32 v31, 0xba95
	v_mov_b32_e32 v43, 0xbbf1
	ds_read_b32 v12, v27
	ds_read2_b32 v[17:18], v9 offset0:68 offset1:136
	v_add_nc_u32_e32 v13, 0xa00, v9
	v_add_nc_u32_e32 v11, 0x200, v9
	;; [unrolled: 1-line block ×3, first 2 shown]
	ds_read2_b32 v[29:30], v13 offset0:108 offset1:176
	ds_read2_b32 v[35:36], v11 offset0:76 offset1:144
	v_add_nc_u32_e32 v13, 0x400, v9
	v_add_nc_u32_e32 v16, 0x800, v9
	ds_read2_b32 v[37:38], v13 offset0:84 offset1:152
	ds_read2_b32 v[39:40], v15 offset0:92 offset1:160
	ds_read2_b32 v[41:42], v16 offset0:100 offset1:168
	v_mov_b32_e32 v33, 0x2fb7
	v_mov_b32_e32 v20, 0x388b
	;; [unrolled: 1-line block ×6, first 2 shown]
	s_waitcnt lgkmcnt(0)
	v_pk_add_f16 v14, v12, v17
	s_barrier
	buffer_gl0_inv
	v_pk_add_f16 v25, v17, v30 neg_lo:[0,1] neg_hi:[0,1]
	v_pk_add_f16 v14, v14, v18
	v_pk_add_f16 v28, v30, v17
	;; [unrolled: 1-line block ×3, first 2 shown]
	v_pk_add_f16 v21, v18, v29 neg_lo:[0,1] neg_hi:[0,1]
	v_mul_f16_sdwa v18, v25, v31 dst_sel:DWORD dst_unused:UNUSED_PAD src0_sel:WORD_1 src1_sel:DWORD
	v_pk_add_f16 v14, v14, v35
	v_mul_f16_sdwa v19, v25, v43 dst_sel:DWORD dst_unused:UNUSED_PAD src0_sel:WORD_1 src1_sel:DWORD
	v_pk_mul_f16 v17, 0xb770, v25 op_sel_hi:[0,1]
	v_mul_f16_sdwa v34, v28, v33 dst_sel:DWORD dst_unused:UNUSED_PAD src0_sel:WORD_1 src1_sel:DWORD
	v_fmamk_f16 v51, v28, 0x388b, v18
	v_pk_add_f16 v50, v14, v36
	v_fma_f16 v53, v28, 0x388b, -v18
	v_fma_f16 v55, v28, 0x2fb7, -v19
	v_pk_mul_f16 v47, 0xba95, v21 op_sel_hi:[0,1]
	v_pk_fma_f16 v14, 0x3b15, v28, v17 op_sel:[0,0,1] op_sel_hi:[0,1,0]
	v_pk_add_f16 v18, v50, v37
	v_fmamk_f16 v50, v28, 0x2fb7, v19
	v_pk_fma_f16 v17, 0x3b15, v28, v17 op_sel:[0,0,1] op_sel_hi:[0,1,0] neg_lo:[0,0,1] neg_hi:[0,0,1]
	v_mul_f16_sdwa v32, v28, v20 dst_sel:DWORD dst_unused:UNUSED_PAD src0_sel:WORD_1 src1_sel:DWORD
	v_mul_f16_sdwa v48, v21, v23 dst_sel:DWORD dst_unused:UNUSED_PAD src0_sel:WORD_1 src1_sel:DWORD
	v_pk_add_f16 v19, v18, v38
	v_fmamk_f16 v54, v25, 0x3bf1, v34
	v_fmac_f16_e32 v34, 0xbbf1, v25
	v_pk_fma_f16 v18, 0x388b, v26, v47 op_sel:[0,0,1] op_sel_hi:[0,1,0]
	v_bfi_b32 v60, 0xffff, v14, v17
	v_pk_add_f16 v58, v19, v39
	v_pk_fma_f16 v19, 0x388b, v26, v47 op_sel:[0,0,1] op_sel_hi:[0,1,0] neg_lo:[0,0,1] neg_hi:[0,0,1]
	v_mul_f16_sdwa v49, v26, v22 dst_sel:DWORD dst_unused:UNUSED_PAD src0_sel:WORD_1 src1_sel:DWORD
	v_fmamk_f16 v52, v25, 0x3a95, v32
	v_fmamk_f16 v47, v26, 0xb5ac, v48
	v_pk_add_f16 v58, v58, v40
	v_add_f16_e32 v51, v12, v51
	v_add_f16_sdwa v61, v12, v34 dst_sel:DWORD dst_unused:UNUSED_PAD src0_sel:WORD_1 src1_sel:DWORD
	v_bfi_b32 v34, 0xffff, v18, v19
	v_pk_add_f16 v60, v12, v60
	v_pk_add_f16 v58, v58, v41
	v_fmac_f16_e32 v32, 0xba95, v25
	v_fmamk_f16 v59, v21, 0x3b7b, v49
	v_add_f16_sdwa v52, v12, v52 dst_sel:DWORD dst_unused:UNUSED_PAD src0_sel:WORD_1 src1_sel:DWORD
	v_add_f16_e32 v47, v47, v51
	v_pk_add_f16 v58, v58, v42
	v_pk_add_f16 v51, v34, v60
	v_mov_b32_e32 v60, 0xbbc4
	v_fma_f16 v48, v26, 0xb5ac, -v48
	v_fmac_f16_e32 v49, 0xbb7b, v21
	v_add_f16_e32 v53, v12, v53
	v_add_f16_sdwa v32, v12, v32 dst_sel:DWORD dst_unused:UNUSED_PAD src0_sel:WORD_1 src1_sel:DWORD
	v_pk_add_f16 v29, v58, v29
	v_mul_f16_sdwa v58, v21, v44 dst_sel:DWORD dst_unused:UNUSED_PAD src0_sel:WORD_1 src1_sel:DWORD
	v_add_f16_e32 v52, v59, v52
	v_mul_f16_sdwa v59, v26, v60 dst_sel:DWORD dst_unused:UNUSED_PAD src0_sel:WORD_1 src1_sel:DWORD
	v_mul_f16_sdwa v45, v25, v23 dst_sel:DWORD dst_unused:UNUSED_PAD src0_sel:WORD_1 src1_sel:DWORD
	;; [unrolled: 1-line block ×3, first 2 shown]
	v_add_f16_e32 v50, v12, v50
	v_add_f16_sdwa v54, v12, v54 dst_sel:DWORD dst_unused:UNUSED_PAD src0_sel:WORD_1 src1_sel:DWORD
	v_pk_add_f16 v29, v29, v30
	v_add_f16_e32 v48, v48, v53
	v_add_f16_e32 v49, v49, v32
	v_fmamk_f16 v53, v26, 0xbbc4, v58
	v_pk_add_f16 v32, v42, v35
	v_pk_add_f16 v30, v35, v42 neg_lo:[0,1] neg_hi:[0,1]
	v_pk_add_f16 v35, v41, v36
	v_pk_add_f16 v34, v36, v41 neg_lo:[0,1] neg_hi:[0,1]
	v_pk_add_f16 v41, v40, v37
	v_pk_add_f16 v36, v37, v40 neg_lo:[0,1] neg_hi:[0,1]
	v_pk_add_f16 v37, v39, v38
	v_pk_add_f16 v38, v38, v39 neg_lo:[0,1] neg_hi:[0,1]
	v_mov_b32_e32 v39, 0x394e
	v_fmamk_f16 v40, v21, 0x33a8, v59
	v_fma_f16 v42, v26, 0xbbc4, -v58
	v_mov_b32_e32 v58, 0xb9fd
	v_fmamk_f16 v56, v28, 0xb5ac, v45
	v_fmamk_f16 v57, v25, 0x3b7b, v46
	v_add_f16_e32 v55, v12, v55
	v_add_f16_e32 v50, v53, v50
	v_mul_f16_sdwa v53, v21, v39 dst_sel:DWORD dst_unused:UNUSED_PAD src0_sel:WORD_1 src1_sel:DWORD
	v_add_f16_e32 v40, v40, v54
	v_fmac_f16_e32 v59, 0xb3a8, v21
	v_mul_f16_sdwa v54, v26, v58 dst_sel:DWORD dst_unused:UNUSED_PAD src0_sel:WORD_1 src1_sel:DWORD
	v_add_f16_e32 v56, v12, v56
	v_add_f16_sdwa v57, v12, v57 dst_sel:DWORD dst_unused:UNUSED_PAD src0_sel:WORD_1 src1_sel:DWORD
	v_add_f16_e32 v42, v42, v55
	v_fmamk_f16 v55, v26, 0xb9fd, v53
	v_add_f16_e32 v59, v59, v61
	v_fmamk_f16 v61, v21, 0xb94e, v54
	v_fma_f16 v45, v28, 0xb5ac, -v45
	v_fmac_f16_e32 v46, 0xbb7b, v25
	v_add_f16_e32 v55, v55, v56
	v_mul_f16_sdwa v63, v28, v58 dst_sel:DWORD dst_unused:UNUSED_PAD src0_sel:WORD_1 src1_sel:DWORD
	v_add_f16_e32 v56, v61, v57
	v_mul_f16_sdwa v57, v25, v62 dst_sel:DWORD dst_unused:UNUSED_PAD src0_sel:WORD_1 src1_sel:DWORD
	v_mov_b32_e32 v61, 0x3bf1
	v_add_f16_e32 v45, v12, v45
	v_fma_f16 v53, v26, 0xb9fd, -v53
	v_add_f16_sdwa v46, v12, v46 dst_sel:DWORD dst_unused:UNUSED_PAD src0_sel:WORD_1 src1_sel:DWORD
	v_fmamk_f16 v64, v28, 0xb9fd, v57
	v_mul_f16_sdwa v65, v21, v61 dst_sel:DWORD dst_unused:UNUSED_PAD src0_sel:WORD_1 src1_sel:DWORD
	v_fmac_f16_e32 v54, 0x394e, v21
	v_fmamk_f16 v66, v25, 0x394e, v63
	v_mul_f16_sdwa v67, v26, v33 dst_sel:DWORD dst_unused:UNUSED_PAD src0_sel:WORD_1 src1_sel:DWORD
	v_add_f16_e32 v45, v53, v45
	v_add_f16_e32 v53, v12, v64
	v_fmamk_f16 v64, v26, 0x2fb7, v65
	v_add_f16_sdwa v66, v12, v66 dst_sel:DWORD dst_unused:UNUSED_PAD src0_sel:WORD_1 src1_sel:DWORD
	v_fmamk_f16 v68, v21, 0xbbf1, v67
	v_add_f16_e32 v46, v54, v46
	v_fma_f16 v54, v28, 0xb9fd, -v57
	v_add_f16_e32 v53, v64, v53
	v_fmac_f16_e32 v63, 0xb94e, v25
	v_pk_mul_f16 v64, 0xbbf1, v30 op_sel_hi:[0,1]
	v_add_f16_e32 v57, v68, v66
	v_add_f16_e32 v54, v12, v54
	v_fma_f16 v65, v26, 0x2fb7, -v65
	v_add_f16_sdwa v63, v12, v63 dst_sel:DWORD dst_unused:UNUSED_PAD src0_sel:WORD_1 src1_sel:DWORD
	v_fmac_f16_e32 v67, 0x3bf1, v21
	v_pk_fma_f16 v66, 0x2fb7, v32, v64 op_sel:[0,0,1] op_sel_hi:[0,1,0]
	v_pk_fma_f16 v64, 0x2fb7, v32, v64 op_sel:[0,0,1] op_sel_hi:[0,1,0] neg_lo:[0,0,1] neg_hi:[0,0,1]
	v_add_f16_e32 v54, v65, v54
	v_mul_f16_sdwa v44, v30, v44 dst_sel:DWORD dst_unused:UNUSED_PAD src0_sel:WORD_1 src1_sel:DWORD
	v_mul_f16_sdwa v65, v32, v60 dst_sel:DWORD dst_unused:UNUSED_PAD src0_sel:WORD_1 src1_sel:DWORD
	v_add_f16_e32 v63, v67, v63
	v_bfi_b32 v67, 0xffff, v66, v64
	v_mov_b32_e32 v68, 0x3b7b
	v_fmamk_f16 v69, v32, 0xbbc4, v44
	v_fmamk_f16 v70, v30, 0x33a8, v65
	v_fma_f16 v44, v32, 0xbbc4, -v44
	v_pk_add_f16 v51, v67, v51
	v_mul_f16_sdwa v67, v30, v68 dst_sel:DWORD dst_unused:UNUSED_PAD src0_sel:WORD_1 src1_sel:DWORD
	v_add_f16_e32 v47, v69, v47
	v_add_f16_e32 v52, v70, v52
	;; [unrolled: 1-line block ×3, first 2 shown]
	v_fmac_f16_e32 v65, 0xb3a8, v30
	v_fmamk_f16 v48, v32, 0xb5ac, v67
	v_mul_f16_sdwa v68, v32, v22 dst_sel:DWORD dst_unused:UNUSED_PAD src0_sel:WORD_1 src1_sel:DWORD
	v_mov_b32_e32 v69, 0x3770
	v_mov_b32_e32 v70, 0x3b15
	v_add_f16_e32 v49, v65, v49
	v_add_f16_e32 v48, v48, v50
	v_fmamk_f16 v50, v30, 0xbb7b, v68
	v_mul_f16_sdwa v65, v30, v69 dst_sel:DWORD dst_unused:UNUSED_PAD src0_sel:WORD_1 src1_sel:DWORD
	v_mul_f16_sdwa v71, v32, v70 dst_sel:DWORD dst_unused:UNUSED_PAD src0_sel:WORD_1 src1_sel:DWORD
	v_fma_f16 v67, v32, 0xb5ac, -v67
	v_fmac_f16_e32 v68, 0x3b7b, v30
	v_add_f16_e32 v40, v50, v40
	v_fmamk_f16 v50, v32, 0x3b15, v65
	v_fmamk_f16 v72, v30, 0xb770, v71
	v_add_f16_e32 v42, v67, v42
	v_mul_f16_sdwa v67, v30, v31 dst_sel:DWORD dst_unused:UNUSED_PAD src0_sel:WORD_1 src1_sel:DWORD
	v_add_f16_e32 v59, v68, v59
	v_add_f16_e32 v50, v50, v55
	;; [unrolled: 1-line block ×3, first 2 shown]
	v_fma_f16 v56, v32, 0x3b15, -v65
	v_fmac_f16_e32 v71, 0x3770, v30
	v_fmamk_f16 v65, v32, 0x388b, v67
	v_mul_f16_sdwa v68, v32, v20 dst_sel:DWORD dst_unused:UNUSED_PAD src0_sel:WORD_1 src1_sel:DWORD
	v_pk_mul_f16 v72, 0xbb7b, v34 op_sel_hi:[0,1]
	v_mul_f16_sdwa v39, v34, v39 dst_sel:DWORD dst_unused:UNUSED_PAD src0_sel:WORD_1 src1_sel:DWORD
	v_fma_f16 v67, v32, 0x388b, -v67
	v_add_f16_e32 v45, v56, v45
	v_add_f16_e32 v46, v71, v46
	;; [unrolled: 1-line block ×3, first 2 shown]
	v_fmamk_f16 v56, v30, 0x3a95, v68
	v_pk_fma_f16 v65, 0xb5ac, v35, v72 op_sel:[0,0,1] op_sel_hi:[0,1,0]
	v_pk_fma_f16 v71, 0xb5ac, v35, v72 op_sel:[0,0,1] op_sel_hi:[0,1,0] neg_lo:[0,0,1] neg_hi:[0,0,1]
	v_fmac_f16_e32 v68, 0xba95, v30
	v_fmamk_f16 v72, v35, 0xb9fd, v39
	v_add_f16_e32 v54, v67, v54
	v_mul_f16_sdwa v67, v35, v58 dst_sel:DWORD dst_unused:UNUSED_PAD src0_sel:WORD_1 src1_sel:DWORD
	v_add_f16_e32 v56, v56, v57
	v_bfi_b32 v57, 0xffff, v65, v71
	v_add_f16_e32 v63, v68, v63
	v_add_f16_e32 v47, v72, v47
	v_fmamk_f16 v68, v34, 0xb94e, v67
	v_mul_f16_sdwa v72, v35, v70 dst_sel:DWORD dst_unused:UNUSED_PAD src0_sel:WORD_1 src1_sel:DWORD
	v_pk_add_f16 v51, v57, v51
	v_mul_f16_sdwa v57, v34, v69 dst_sel:DWORD dst_unused:UNUSED_PAD src0_sel:WORD_1 src1_sel:DWORD
	v_fma_f16 v39, v35, 0xb9fd, -v39
	v_fmac_f16_e32 v67, 0x394e, v34
	v_add_f16_e32 v52, v68, v52
	v_fmamk_f16 v68, v34, 0xb770, v72
	v_mul_f16_sdwa v43, v34, v43 dst_sel:DWORD dst_unused:UNUSED_PAD src0_sel:WORD_1 src1_sel:DWORD
	v_fmamk_f16 v73, v35, 0x3b15, v57
	v_add_f16_e32 v39, v39, v44
	v_add_f16_e32 v44, v67, v49
	;; [unrolled: 1-line block ×3, first 2 shown]
	v_mul_f16_sdwa v49, v35, v33 dst_sel:DWORD dst_unused:UNUSED_PAD src0_sel:WORD_1 src1_sel:DWORD
	v_fma_f16 v57, v35, 0x3b15, -v57
	v_fmac_f16_e32 v72, 0x3770, v34
	v_fmamk_f16 v67, v35, 0x2fb7, v43
	v_mov_b32_e32 v68, 0x33a8
	v_add_f16_e32 v48, v73, v48
	v_fmamk_f16 v73, v34, 0x3bf1, v49
	v_add_f16_e32 v42, v57, v42
	v_add_f16_e32 v57, v72, v59
	;; [unrolled: 1-line block ×3, first 2 shown]
	v_mul_f16_sdwa v59, v34, v68 dst_sel:DWORD dst_unused:UNUSED_PAD src0_sel:WORD_1 src1_sel:DWORD
	v_fma_f16 v43, v35, 0x2fb7, -v43
	v_fmac_f16_e32 v49, 0xbbf1, v34
	v_mul_f16_sdwa v67, v35, v60 dst_sel:DWORD dst_unused:UNUSED_PAD src0_sel:WORD_1 src1_sel:DWORD
	v_add_f16_e32 v55, v73, v55
	v_fmamk_f16 v72, v35, 0xbbc4, v59
	v_pk_mul_f16 v73, 0xb94e, v36 op_sel_hi:[0,1]
	v_add_f16_e32 v43, v43, v45
	v_add_f16_e32 v45, v49, v46
	v_fmamk_f16 v46, v34, 0xb3a8, v67
	v_add_f16_e32 v49, v72, v53
	v_pk_fma_f16 v53, 0xb9fd, v41, v73 op_sel:[0,0,1] op_sel_hi:[0,1,0]
	v_pk_fma_f16 v72, 0xb9fd, v41, v73 op_sel:[0,0,1] op_sel_hi:[0,1,0] neg_lo:[0,0,1] neg_hi:[0,0,1]
	v_fma_f16 v59, v35, 0xbbc4, -v59
	v_add_f16_e32 v46, v46, v56
	v_mul_f16_sdwa v56, v36, v61 dst_sel:DWORD dst_unused:UNUSED_PAD src0_sel:WORD_1 src1_sel:DWORD
	v_mul_f16_sdwa v33, v41, v33 dst_sel:DWORD dst_unused:UNUSED_PAD src0_sel:WORD_1 src1_sel:DWORD
	v_bfi_b32 v61, 0xffff, v53, v72
	v_add_f16_e32 v54, v59, v54
	v_mul_f16_sdwa v31, v36, v31 dst_sel:DWORD dst_unused:UNUSED_PAD src0_sel:WORD_1 src1_sel:DWORD
	v_fmamk_f16 v59, v41, 0x2fb7, v56
	v_fma_f16 v56, v41, 0x2fb7, -v56
	v_pk_add_f16 v51, v61, v51
	v_fmamk_f16 v61, v36, 0xbbf1, v33
	v_fmac_f16_e32 v33, 0x3bf1, v36
	v_add_f16_e32 v47, v59, v47
	v_fmamk_f16 v59, v41, 0x388b, v31
	v_add_f16_e32 v39, v56, v39
	v_add_f16_e32 v52, v61, v52
	;; [unrolled: 1-line block ×3, first 2 shown]
	v_mul_f16_sdwa v61, v41, v20 dst_sel:DWORD dst_unused:UNUSED_PAD src0_sel:WORD_1 src1_sel:DWORD
	v_add_f16_e32 v44, v59, v48
	v_mul_f16_sdwa v48, v36, v68 dst_sel:DWORD dst_unused:UNUSED_PAD src0_sel:WORD_1 src1_sel:DWORD
	v_mul_f16_sdwa v59, v41, v60 dst_sel:DWORD dst_unused:UNUSED_PAD src0_sel:WORD_1 src1_sel:DWORD
	v_fma_f16 v31, v41, 0x388b, -v31
	v_fmamk_f16 v56, v36, 0x3a95, v61
	v_fmac_f16_e32 v61, 0xba95, v36
	v_fmamk_f16 v60, v41, 0xbbc4, v48
	v_fmac_f16_e32 v67, 0x33a8, v34
	v_add_f16_e32 v31, v31, v42
	v_add_f16_e32 v40, v56, v40
	v_fmamk_f16 v42, v36, 0xb3a8, v59
	v_add_f16_e32 v50, v60, v50
	v_mul_f16_sdwa v60, v41, v70 dst_sel:DWORD dst_unused:UNUSED_PAD src0_sel:WORD_1 src1_sel:DWORD
	v_add_f16_e32 v56, v61, v57
	v_mul_f16_sdwa v57, v36, v69 dst_sel:DWORD dst_unused:UNUSED_PAD src0_sel:WORD_1 src1_sel:DWORD
	v_add_f16_e32 v42, v42, v55
	v_fmac_f16_e32 v59, 0x33a8, v36
	v_fmamk_f16 v61, v36, 0xb770, v60
	v_mul_f16_sdwa v58, v37, v58 dst_sel:DWORD dst_unused:UNUSED_PAD src0_sel:WORD_1 src1_sel:DWORD
	v_fmamk_f16 v55, v41, 0x3b15, v57
	v_fma_f16 v57, v41, 0x3b15, -v57
	v_add_f16_e32 v45, v59, v45
	v_add_f16_e32 v46, v61, v46
	v_mul_f16_sdwa v61, v37, v70 dst_sel:DWORD dst_unused:UNUSED_PAD src0_sel:WORD_1 src1_sel:DWORD
	v_mul_f16_sdwa v59, v38, v69 dst_sel:DWORD dst_unused:UNUSED_PAD src0_sel:WORD_1 src1_sel:DWORD
	v_add_f16_e32 v54, v57, v54
	v_add_f16_e32 v63, v67, v63
	v_fma_f16 v48, v41, 0xbbc4, -v48
	v_fmamk_f16 v57, v38, 0xb770, v61
	v_fmamk_f16 v68, v37, 0x3b15, v59
	v_pk_mul_f16 v67, 0xb3a8, v38 op_sel_hi:[0,1]
	v_mul_f16_sdwa v20, v37, v20 dst_sel:DWORD dst_unused:UNUSED_PAD src0_sel:WORD_1 src1_sel:DWORD
	v_add_f16_e32 v43, v48, v43
	v_add_f16_e32 v52, v57, v52
	v_fma_f16 v57, v37, 0x3b15, -v59
	v_mov_b32_e32 v59, 0x3a95
	v_add_f16_e32 v48, v55, v49
	v_pk_fma_f16 v49, 0xbbc4, v37, v67 op_sel:[0,0,1] op_sel_hi:[0,1,0]
	v_pk_fma_f16 v55, 0xbbc4, v37, v67 op_sel:[0,0,1] op_sel_hi:[0,1,0] neg_lo:[0,0,1] neg_hi:[0,0,1]
	v_add_f16_e32 v39, v57, v39
	v_mul_f16_sdwa v57, v38, v59 dst_sel:DWORD dst_unused:UNUSED_PAD src0_sel:WORD_1 src1_sel:DWORD
	v_fmamk_f16 v59, v38, 0x394e, v58
	v_fmac_f16_e32 v58, 0xb94e, v38
	v_mul_f16_sdwa v23, v38, v23 dst_sel:DWORD dst_unused:UNUSED_PAD src0_sel:WORD_1 src1_sel:DWORD
	v_fmac_f16_e32 v60, 0x3770, v36
	v_bfi_b32 v67, 0xffff, v49, v55
	v_mul_f16_sdwa v62, v38, v62 dst_sel:DWORD dst_unused:UNUSED_PAD src0_sel:WORD_1 src1_sel:DWORD
	v_add_f16_e32 v56, v58, v56
	v_fmamk_f16 v58, v38, 0xba95, v20
	v_fmac_f16_e32 v20, 0x3a95, v38
	v_pk_mul_f16 v28, 0xbbc4, v28 op_sel_hi:[0,1]
	v_add_f16_e32 v60, v60, v63
	v_pk_add_f16 v51, v67, v51
	v_add_f16_e32 v42, v58, v42
	v_fmamk_f16 v58, v37, 0xb5ac, v23
	v_fma_f16 v23, v37, 0xb5ac, -v23
	v_fmamk_f16 v63, v37, 0xb9fd, v62
	v_add_f16_e32 v20, v20, v45
	v_pk_mul_f16 v26, 0x3b15, v26 op_sel_hi:[0,1]
	v_add_f16_e32 v45, v58, v48
	v_add_f16_e32 v23, v23, v54
	v_mad_u32_u24 v48, v3, 48, v9
	v_pk_fma_f16 v54, 0xb3a8, v25, v28 op_sel:[0,0,1] op_sel_hi:[0,1,0]
	v_add_f16_e32 v47, v68, v47
	v_add_f16_e32 v44, v63, v44
	;; [unrolled: 1-line block ×3, first 2 shown]
	ds_write2_b32 v48, v29, v51 offset1:1
	v_alignbit_b32 v29, s0, v54, 16
	v_pk_fma_f16 v25, 0xb3a8, v25, v28 op_sel:[0,0,1] op_sel_hi:[0,1,0] neg_lo:[0,1,0] neg_hi:[0,1,0]
	v_pk_fma_f16 v28, 0x3770, v21, v26 op_sel:[0,0,1] op_sel_hi:[0,1,0]
	v_pk_mul_f16 v32, 0xb9fd, v32 op_sel_hi:[0,1]
	v_pack_b32_f16 v40, v44, v40
	v_pack_b32_f16 v44, v47, v52
	v_pk_add_f16 v29, v12, v29
	v_alignbit_b32 v47, s0, v12, 16
	v_pk_add_f16 v25, v12, v25 op_sel:[1,0] op_sel_hi:[0,1]
	v_alignbit_b32 v51, s0, v28, 16
	v_pk_fma_f16 v21, 0x3770, v21, v26 op_sel:[0,0,1] op_sel_hi:[0,1,0] neg_lo:[0,1,0] neg_hi:[0,1,0]
	v_pk_fma_f16 v26, 0xb94e, v30, v32 op_sel:[0,0,1] op_sel_hi:[0,1,0]
	v_pk_mul_f16 v35, 0x388b, v35 op_sel_hi:[0,1]
	v_pk_add_f16 v47, v47, v54
	v_pk_add_f16 v29, v51, v29
	;; [unrolled: 1-line block ×3, first 2 shown]
	v_alignbit_b32 v25, s0, v26, 16
	v_pk_fma_f16 v30, 0xb94e, v30, v32 op_sel:[0,0,1] op_sel_hi:[0,1,0] neg_lo:[0,1,0] neg_hi:[0,1,0]
	v_pk_fma_f16 v32, 0x3a95, v34, v35 op_sel:[0,0,1] op_sel_hi:[0,1,0]
	v_pk_mul_f16 v41, 0xb5ac, v41 op_sel_hi:[0,1]
	v_bfi_b32 v14, 0xffff, v17, v14
	v_pk_add_f16 v28, v28, v47
	v_pk_add_f16 v25, v25, v29
	;; [unrolled: 1-line block ×3, first 2 shown]
	v_alignbit_b32 v29, s0, v32, 16
	v_pk_fma_f16 v30, 0x3a95, v34, v35 op_sel:[0,0,1] op_sel_hi:[0,1,0] neg_lo:[0,1,0] neg_hi:[0,1,0]
	v_pk_fma_f16 v34, 0xbb7b, v36, v41 op_sel:[0,0,1] op_sel_hi:[0,1,0]
	v_pk_add_f16 v12, v12, v14
	v_bfi_b32 v14, 0xffff, v19, v18
	v_fmac_f16_e32 v61, 0x3770, v38
	v_pk_add_f16 v26, v26, v28
	v_pk_add_f16 v17, v29, v25
	v_alignbit_b32 v25, s0, v34, 16
	v_pk_mul_f16 v28, 0x2fb7, v37 op_sel_hi:[0,1]
	v_pk_add_f16 v12, v14, v12
	v_bfi_b32 v14, 0xffff, v64, v66
	v_add_f16_e32 v33, v61, v33
	v_fma_f16 v61, v37, 0xb9fd, -v62
	v_fmamk_f16 v62, v37, 0x388b, v57
	v_fma_f16 v57, v37, 0x388b, -v57
	v_mul_f16_sdwa v22, v37, v22 dst_sel:DWORD dst_unused:UNUSED_PAD src0_sel:WORD_1 src1_sel:DWORD
	v_pk_add_f16 v21, v30, v21
	v_pk_add_f16 v18, v32, v26
	v_pk_fma_f16 v19, 0xbb7b, v36, v41 op_sel:[0,0,1] op_sel_hi:[0,1,0] neg_lo:[0,1,0] neg_hi:[0,1,0]
	v_pk_add_f16 v17, v25, v17
	v_pk_fma_f16 v25, 0x3bf1, v38, v28 op_sel:[0,0,1] op_sel_hi:[0,1,0]
	v_pk_add_f16 v12, v14, v12
	v_bfi_b32 v14, 0xffff, v71, v65
	v_add_f16_e32 v43, v57, v43
	v_fmamk_f16 v57, v38, 0x3b7b, v22
	v_pk_add_f16 v19, v19, v21
	v_pk_add_f16 v18, v34, v18
	v_alignbit_b32 v21, s0, v25, 16
	v_pk_fma_f16 v26, 0x3bf1, v38, v28 op_sel:[0,0,1] op_sel_hi:[0,1,0] neg_lo:[0,1,0] neg_hi:[0,1,0]
	v_fmac_f16_e32 v22, 0xbb7b, v38
	v_pk_add_f16 v12, v14, v12
	v_bfi_b32 v14, 0xffff, v72, v53
	v_add_f16_e32 v50, v62, v50
	v_add_f16_e32 v46, v57, v46
	v_pk_add_f16 v17, v21, v17
	v_pk_add_f16 v19, v26, v19
	;; [unrolled: 1-line block ×3, first 2 shown]
	v_add_f16_e32 v22, v22, v60
	v_add_f16_e32 v31, v61, v31
	v_pk_add_f16 v12, v14, v12
	v_bfi_b32 v14, 0xffff, v55, v49
	v_pack_b32_f16 v25, v45, v46
	v_pack_b32_f16 v26, v50, v42
	v_alignbit_b32 v18, v18, v19, 16
	v_pack_b32_f16 v17, v17, v19
	v_pack_b32_f16 v19, v43, v20
	;; [unrolled: 1-line block ×5, first 2 shown]
	v_lshl_add_u32 v28, v10, 2, v0
	v_pk_add_f16 v21, v14, v12
	v_lshl_add_u32 v29, v8, 2, v0
	ds_write2_b32 v48, v44, v40 offset0:2 offset1:3
	ds_write2_b32 v48, v26, v25 offset0:4 offset1:5
	;; [unrolled: 1-line block ×5, first 2 shown]
	ds_write_b32 v48, v21 offset:48
	s_waitcnt lgkmcnt(0)
	s_barrier
	buffer_gl0_inv
	ds_read_b32 v22, v27
	ds_read2_b32 v[11:12], v11 offset0:93 offset1:161
	ds_read2_b32 v[13:14], v13 offset0:101 offset1:186
	;; [unrolled: 1-line block ×4, first 2 shown]
	ds_read_b32 v23, v28
	ds_read_b32 v25, v29
	ds_read_b32 v30, v9 offset:3196
	v_cmp_gt_u32_e64 s0, 17, v3
	v_lshrrev_b32_e32 v26, 16, v21
                                        ; implicit-def: $vgpr31
                                        ; implicit-def: $vgpr19
                                        ; implicit-def: $vgpr32
                                        ; implicit-def: $vgpr34
                                        ; implicit-def: $vgpr33
	s_and_saveexec_b32 s1, s0
	s_cbranch_execz .LBB0_14
; %bb.13:
	v_lshlrev_b32_e32 v19, 2, v7
	v_add_nc_u32_e32 v20, 0x680, v9
	v_add3_u32 v21, 0, v19, v24
	ds_read2_b32 v[19:20], v20 offset0:9 offset1:230
	ds_read_b32 v21, v21
	ds_read_b32 v33, v9 offset:3468
	s_waitcnt lgkmcnt(2)
	v_lshrrev_b32_e32 v31, 16, v19
	v_lshrrev_b32_e32 v32, 16, v20
	s_waitcnt lgkmcnt(1)
	v_lshrrev_b32_e32 v26, 16, v21
	s_waitcnt lgkmcnt(0)
	v_lshrrev_b32_e32 v34, 16, v33
.LBB0_14:
	s_or_b32 exec_lo, exec_lo, s1
	v_and_b32_e32 v35, 0xff, v3
	v_and_b32_e32 v36, 0xff, v8
	v_mov_b32_e32 v43, 3
	s_waitcnt lgkmcnt(6)
	v_lshrrev_b32_e32 v59, 16, v11
	s_waitcnt lgkmcnt(5)
	v_lshrrev_b32_e32 v60, 16, v14
	v_mul_lo_u16 v35, 0x4f, v35
	s_waitcnt lgkmcnt(4)
	v_lshrrev_b32_e32 v61, 16, v17
	v_lshrrev_b32_e32 v62, 16, v12
	s_waitcnt lgkmcnt(3)
	v_lshrrev_b32_e32 v63, 16, v15
	v_lshrrev_b32_e32 v64, 16, v18
	v_lshrrev_b16 v49, 10, v35
	v_mul_lo_u16 v35, 0x4f, v36
	v_and_b32_e32 v36, 0xff, v10
	s_waitcnt lgkmcnt(0)
	v_lshrrev_b32_e32 v58, 16, v30
	v_lshrrev_b32_e32 v65, 16, v13
	v_mul_lo_u16 v37, v49, 13
	v_lshrrev_b16 v50, 10, v35
	v_mul_lo_u16 v35, 0x4f, v36
	v_mov_b32_e32 v36, 0x4ec5
	v_and_b32_e32 v49, 0xffff, v49
	v_sub_nc_u16 v51, v3, v37
	v_mul_lo_u16 v37, v50, 13
	v_lshrrev_b16 v52, 10, v35
	v_mul_u32_u24_sdwa v35, v7, v36 dst_sel:DWORD dst_unused:UNUSED_PAD src0_sel:WORD_0 src1_sel:DWORD
	v_and_b32_e32 v50, 0xffff, v50
	v_mul_u32_u24_sdwa v36, v51, v43 dst_sel:DWORD dst_unused:UNUSED_PAD src0_sel:BYTE_0 src1_sel:DWORD
	v_sub_nc_u16 v53, v8, v37
	v_mul_lo_u16 v37, v52, 13
	v_lshrrev_b32_e32 v35, 18, v35
	v_and_b32_e32 v52, 0xffff, v52
	v_lshlrev_b32_e32 v36, 2, v36
	v_mul_u32_u24_sdwa v40, v53, v43 dst_sel:DWORD dst_unused:UNUSED_PAD src0_sel:BYTE_0 src1_sel:DWORD
	v_sub_nc_u16 v54, v10, v37
	v_mul_lo_u16 v35, v35, 13
	v_mad_u32_u24 v49, 0xd0, v49, 0
	global_load_dwordx3 v[37:39], v36, s[12:13]
	v_lshlrev_b32_e32 v36, 2, v40
	v_mul_u32_u24_sdwa v44, v54, v43 dst_sel:DWORD dst_unused:UNUSED_PAD src0_sel:BYTE_0 src1_sel:DWORD
	v_sub_nc_u16 v35, v7, v35
	v_mad_u32_u24 v50, 0xd0, v50, 0
	v_mad_u32_u24 v52, 0xd0, v52, 0
	global_load_dwordx3 v[40:42], v36, s[12:13]
	v_lshlrev_b32_e32 v36, 2, v44
	v_mul_u32_u24_sdwa v46, v35, v43 dst_sel:DWORD dst_unused:UNUSED_PAD src0_sel:WORD_0 src1_sel:DWORD
	v_lshrrev_b32_e32 v66, 16, v16
	v_lshrrev_b32_e32 v55, 16, v22
	;; [unrolled: 1-line block ×3, first 2 shown]
	global_load_dwordx3 v[43:45], v36, s[12:13]
	v_lshlrev_b32_e32 v36, 2, v46
	v_lshrrev_b32_e32 v57, 16, v23
	global_load_dwordx3 v[46:48], v36, s[12:13]
	v_mov_b32_e32 v36, 2
	s_waitcnt vmcnt(0)
	s_barrier
	buffer_gl0_inv
	v_lshlrev_b32_sdwa v51, v36, v51 dst_sel:DWORD dst_unused:UNUSED_PAD src0_sel:DWORD src1_sel:BYTE_0
	v_lshlrev_b32_sdwa v53, v36, v53 dst_sel:DWORD dst_unused:UNUSED_PAD src0_sel:DWORD src1_sel:BYTE_0
	;; [unrolled: 1-line block ×3, first 2 shown]
	v_add3_u32 v67, v49, v51, v24
	v_add3_u32 v68, v50, v53, v24
	;; [unrolled: 1-line block ×3, first 2 shown]
	v_mul_f16_sdwa v49, v37, v59 dst_sel:DWORD dst_unused:UNUSED_PAD src0_sel:WORD_1 src1_sel:DWORD
	v_mul_f16_sdwa v50, v37, v11 dst_sel:DWORD dst_unused:UNUSED_PAD src0_sel:WORD_1 src1_sel:DWORD
	;; [unrolled: 1-line block ×16, first 2 shown]
	v_mul_f16_sdwa v80, v58, v45 dst_sel:DWORD dst_unused:UNUSED_PAD src0_sel:DWORD src1_sel:WORD_1
	v_mul_f16_sdwa v81, v30, v45 dst_sel:DWORD dst_unused:UNUSED_PAD src0_sel:DWORD src1_sel:WORD_1
	;; [unrolled: 1-line block ×8, first 2 shown]
	v_fma_f16 v50, v37, v59, -v50
	v_fma_f16 v53, v38, v60, -v53
	;; [unrolled: 1-line block ×3, first 2 shown]
	v_fmac_f16_e32 v49, v37, v11
	v_fmac_f16_e32 v51, v38, v14
	v_fmac_f16_e32 v54, v39, v17
	v_fmac_f16_e32 v70, v40, v12
	v_fma_f16 v11, v40, v62, -v71
	v_fmac_f16_e32 v72, v41, v15
	v_fma_f16 v12, v41, v63, -v73
	v_fmac_f16_e32 v74, v42, v18
	;; [unrolled: 2-line block ×8, first 2 shown]
	v_fma_f16 v19, v34, v48, -v87
	v_sub_f16_e32 v20, v22, v51
	v_sub_f16_e32 v30, v55, v53
	;; [unrolled: 1-line block ×16, first 2 shown]
	v_fma_f16 v43, v22, 2.0, -v20
	v_fma_f16 v44, v55, 2.0, -v30
	v_fma_f16 v22, v49, 2.0, -v31
	v_fma_f16 v45, v50, 2.0, -v32
	v_add_f16_e32 v13, v20, v32
	v_sub_f16_e32 v48, v30, v31
	v_fma_f16 v32, v25, 2.0, -v33
	v_fma_f16 v46, v56, 2.0, -v12
	;; [unrolled: 1-line block ×4, first 2 shown]
	v_add_f16_e32 v11, v33, v14
	v_sub_f16_e32 v54, v12, v34
	v_fma_f16 v34, v23, 2.0, -v37
	v_fma_f16 v47, v57, 2.0, -v38
	;; [unrolled: 1-line block ×4, first 2 shown]
	v_sub_f16_e32 v53, v38, v39
	v_fma_f16 v39, v21, 2.0, -v40
	v_fma_f16 v62, v26, 2.0, -v41
	;; [unrolled: 1-line block ×4, first 2 shown]
	v_sub_f16_e32 v51, v41, v18
	v_sub_f16_e32 v18, v43, v22
	;; [unrolled: 1-line block ×5, first 2 shown]
	v_add_f16_e32 v19, v37, v16
	v_sub_f16_e32 v16, v34, v14
	v_sub_f16_e32 v56, v47, v15
	v_add_f16_e32 v23, v40, v42
	v_sub_f16_e32 v26, v39, v26
	v_sub_f16_e32 v61, v62, v57
	v_fma_f16 v17, v20, 2.0, -v13
	v_fma_f16 v50, v30, 2.0, -v48
	;; [unrolled: 1-line block ×14, first 2 shown]
	v_pack_b32_f16 v33, v13, v48
	v_fma_f16 v20, v39, 2.0, -v26
	v_fma_f16 v62, v62, 2.0, -v61
	v_pack_b32_f16 v34, v18, v49
	v_pack_b32_f16 v32, v17, v50
	;; [unrolled: 1-line block ×11, first 2 shown]
	ds_write2_b32 v67, v34, v33 offset0:26 offset1:39
	ds_write2_b32 v67, v42, v32 offset1:13
	ds_write2_b32 v68, v43, v39 offset1:13
	ds_write2_b32 v68, v40, v37 offset0:26 offset1:39
	ds_write2_b32 v52, v45, v41 offset1:13
	ds_write2_b32 v52, v44, v38 offset0:26 offset1:39
	s_and_saveexec_b32 s1, s0
	s_cbranch_execz .LBB0_16
; %bb.15:
	v_and_b32_e32 v32, 0xff, v7
	v_lshlrev_b32_sdwa v33, v36, v35 dst_sel:DWORD dst_unused:UNUSED_PAD src0_sel:DWORD src1_sel:WORD_0
	v_perm_b32 v34, v62, v20, 0x5040100
	v_perm_b32 v35, v60, v25, 0x5040100
	;; [unrolled: 1-line block ×3, first 2 shown]
	v_mul_lo_u16 v32, 0x4f, v32
	v_lshrrev_b16 v32, 10, v32
	v_and_b32_e32 v32, 0xffff, v32
	v_mad_u32_u24 v32, 0xd0, v32, 0
	v_add3_u32 v24, v32, v33, v24
	v_perm_b32 v32, v51, v23, 0x5040100
	ds_write2_b32 v24, v34, v35 offset1:13
	ds_write2_b32 v24, v36, v32 offset0:26 offset1:39
.LBB0_16:
	s_or_b32 exec_lo, exec_lo, s1
	v_cmp_gt_u32_e64 s0, 52, v3
	s_waitcnt lgkmcnt(0)
	s_barrier
	buffer_gl0_inv
                                        ; implicit-def: $vgpr52
	s_and_saveexec_b32 s1, s0
	s_cbranch_execz .LBB0_18
; %bb.17:
	v_add_nc_u32_e32 v22, 0x800, v9
	v_add_nc_u32_e32 v21, 0x400, v9
	;; [unrolled: 1-line block ×4, first 2 shown]
	ds_read_b32 v30, v27
	ds_read2_b32 v[17:18], v9 offset0:52 offset1:104
	ds_read2_b32 v[13:14], v9 offset0:156 offset1:208
	;; [unrolled: 1-line block ×8, first 2 shown]
	s_waitcnt lgkmcnt(8)
	v_lshrrev_b32_e32 v31, 16, v30
	s_waitcnt lgkmcnt(7)
	v_lshrrev_b32_e32 v50, 16, v17
	v_lshrrev_b32_e32 v49, 16, v18
	s_waitcnt lgkmcnt(6)
	v_lshrrev_b32_e32 v48, 16, v13
	s_waitcnt lgkmcnt(5)
	;; [unrolled: 2-line block ×3, first 2 shown]
	v_lshrrev_b32_e32 v55, 16, v15
	v_lshrrev_b32_e32 v56, 16, v16
	s_waitcnt lgkmcnt(3)
	v_lshrrev_b32_e32 v53, 16, v19
	v_lshrrev_b32_e32 v62, 16, v20
	s_waitcnt lgkmcnt(2)
	;; [unrolled: 3-line block ×3, first 2 shown]
	v_lshrrev_b32_e32 v51, 16, v23
	v_lshrrev_b32_e32 v52, 16, v24
	;; [unrolled: 1-line block ×3, first 2 shown]
	s_waitcnt lgkmcnt(0)
	v_lshrrev_b32_e32 v59, 16, v21
	v_lshrrev_b32_e32 v58, 16, v22
	;; [unrolled: 1-line block ×3, first 2 shown]
.LBB0_18:
	s_or_b32 exec_lo, exec_lo, s1
	s_barrier
	buffer_gl0_inv
	s_and_saveexec_b32 s1, s0
	s_cbranch_execz .LBB0_20
; %bb.19:
	v_lshlrev_b32_e32 v32, 4, v3
	v_mov_b32_e32 v33, 0
	v_add_nc_u32_e32 v34, 0xfffffcc0, v32
	v_cndmask_b32_e64 v32, v34, v32, s0
	v_lshlrev_b64 v[32:33], 2, v[32:33]
	v_add_co_u32 v32, s0, s12, v32
	v_add_co_ci_u32_e64 v33, s0, s13, v33, s0
	s_clause 0x3
	global_load_dwordx4 v[64:67], v[32:33], off offset:156
	global_load_dwordx4 v[68:71], v[32:33], off offset:204
	;; [unrolled: 1-line block ×4, first 2 shown]
	s_waitcnt vmcnt(3)
	v_mul_f16_sdwa v38, v50, v64 dst_sel:DWORD dst_unused:UNUSED_PAD src0_sel:DWORD src1_sel:WORD_1
	s_waitcnt vmcnt(2)
	v_mul_f16_sdwa v32, v52, v71 dst_sel:DWORD dst_unused:UNUSED_PAD src0_sel:DWORD src1_sel:WORD_1
	v_mul_f16_sdwa v80, v24, v71 dst_sel:DWORD dst_unused:UNUSED_PAD src0_sel:DWORD src1_sel:WORD_1
	;; [unrolled: 1-line block ×5, first 2 shown]
	v_fmac_f16_e32 v38, v17, v64
	v_fmac_f16_e32 v32, v24, v71
	v_mul_f16_sdwa v82, v23, v70 dst_sel:DWORD dst_unused:UNUSED_PAD src0_sel:DWORD src1_sel:WORD_1
	v_mul_f16_sdwa v83, v18, v65 dst_sel:DWORD dst_unused:UNUSED_PAD src0_sel:DWORD src1_sel:WORD_1
	v_mul_f16_sdwa v34, v61, v69 dst_sel:DWORD dst_unused:UNUSED_PAD src0_sel:DWORD src1_sel:WORD_1
	v_mul_f16_sdwa v35, v60, v68 dst_sel:DWORD dst_unused:UNUSED_PAD src0_sel:DWORD src1_sel:WORD_1
	s_waitcnt vmcnt(1)
	v_mul_f16_sdwa v43, v59, v72 dst_sel:DWORD dst_unused:UNUSED_PAD src0_sel:DWORD src1_sel:WORD_1
	v_mul_f16_sdwa v44, v58, v73 dst_sel:DWORD dst_unused:UNUSED_PAD src0_sel:DWORD src1_sel:WORD_1
	;; [unrolled: 1-line block ×4, first 2 shown]
	s_waitcnt vmcnt(0)
	v_mul_f16_sdwa v94, v15, v76 dst_sel:DWORD dst_unused:UNUSED_PAD src0_sel:DWORD src1_sel:WORD_1
	v_fma_f16 v17, v52, v71, -v80
	v_fma_f16 v52, v50, v64, -v81
	v_fmac_f16_e32 v39, v18, v65
	v_fmac_f16_e32 v33, v23, v70
	v_sub_f16_e32 v23, v38, v32
	v_mul_f16_sdwa v84, v26, v69 dst_sel:DWORD dst_unused:UNUSED_PAD src0_sel:DWORD src1_sel:WORD_1
	v_mul_f16_sdwa v86, v25, v68 dst_sel:DWORD dst_unused:UNUSED_PAD src0_sel:DWORD src1_sel:WORD_1
	;; [unrolled: 1-line block ×10, first 2 shown]
	v_fma_f16 v18, v51, v70, -v82
	v_fma_f16 v51, v49, v65, -v83
	v_fmac_f16_e32 v34, v26, v69
	v_fmac_f16_e32 v35, v25, v68
	;; [unrolled: 1-line block ×4, first 2 shown]
	v_fma_f16 v26, v58, v73, -v91
	v_fma_f16 v25, v54, v74, -v93
	;; [unrolled: 1-line block ×3, first 2 shown]
	v_add_f16_e32 v58, v52, v17
	v_sub_f16_e32 v22, v39, v33
	v_sub_f16_e32 v55, v52, v17
	v_mul_f16_e32 v93, 0xb964, v23
	v_mul_f16_sdwa v37, v53, v78 dst_sel:DWORD dst_unused:UNUSED_PAD src0_sel:DWORD src1_sel:WORD_1
	v_mul_f16_sdwa v90, v19, v78 dst_sel:DWORD dst_unused:UNUSED_PAD src0_sel:DWORD src1_sel:WORD_1
	;; [unrolled: 1-line block ×3, first 2 shown]
	v_fmac_f16_e32 v36, v20, v79
	v_fma_f16 v20, v62, v79, -v88
	v_fmac_f16_e32 v46, v11, v74
	v_fmac_f16_e32 v40, v16, v77
	v_fma_f16 v11, v56, v77, -v92
	v_fma_f16 v24, v57, v75, -v95
	v_add_f16_e32 v57, v51, v18
	v_add_f16_e32 v16, v38, v32
	v_sub_f16_e32 v54, v51, v18
	v_mul_f16_e32 v92, 0xbbf7, v22
	v_mul_f16_e32 v83, 0xb964, v55
	;; [unrolled: 1-line block ×3, first 2 shown]
	v_fmamk_f16 v88, v58, 0x39e9, v93
	v_fmac_f16_e32 v37, v19, v78
	v_fma_f16 v19, v53, v78, -v90
	v_fmac_f16_e32 v45, v15, v76
	v_add_f16_e32 v15, v39, v33
	v_mul_f16_e32 v80, 0xbbf7, v54
	v_mul_f16_e32 v107, 0xba62, v22
	;; [unrolled: 1-line block ×5, first 2 shown]
	v_fmamk_f16 v90, v57, 0x2de8, v92
	v_fma_f16 v91, v16, 0x39e9, -v83
	v_fmamk_f16 v139, v58, 0x3722, v108
	v_add_f16_e32 v88, v31, v88
	v_mul_f16_sdwa v41, v48, v66 dst_sel:DWORD dst_unused:UNUSED_PAD src0_sel:DWORD src1_sel:WORD_1
	v_mul_f16_sdwa v85, v13, v66 dst_sel:DWORD dst_unused:UNUSED_PAD src0_sel:DWORD src1_sel:WORD_1
	v_mul_f16_e32 v100, 0xba62, v54
	v_mul_f16_e32 v142, 0x3836, v22
	;; [unrolled: 1-line block ×5, first 2 shown]
	v_fma_f16 v138, v15, 0x2de8, -v80
	v_fmamk_f16 v140, v57, 0xb8d2, v107
	v_fma_f16 v141, v16, 0x3722, -v103
	v_fmamk_f16 v162, v58, 0xb461, v143
	v_add_f16_e32 v91, v30, v91
	v_add_f16_e32 v88, v90, v88
	v_fmamk_f16 v90, v58, 0xb8d2, v164
	v_add_f16_e32 v139, v31, v139
	v_fmac_f16_e32 v41, v13, v66
	v_fma_f16 v13, v61, v69, -v84
	v_fma_f16 v50, v48, v66, -v85
	v_mul_f16_e32 v124, 0xbbf7, v23
	v_mul_f16_e32 v132, 0x3836, v54
	;; [unrolled: 1-line block ×5, first 2 shown]
	v_fma_f16 v144, v15, 0xb8d2, -v100
	v_fmamk_f16 v187, v57, 0xbacd, v142
	v_fma_f16 v189, v16, 0xb461, -v135
	v_add_f16_e32 v141, v30, v141
	v_add_f16_e32 v91, v138, v91
	v_fmamk_f16 v138, v57, 0xb461, v163
	v_add_f16_e32 v139, v140, v139
	v_fma_f16 v140, v16, 0xb8d2, -v161
	v_add_f16_e32 v162, v31, v162
	v_add_f16_e32 v90, v31, v90
	v_fmac_f16_e32 v47, v12, v75
	v_sub_f16_e32 v12, v41, v34
	v_sub_f16_e32 v53, v50, v13
	v_mul_f16_e32 v123, 0xb1e1, v22
	v_mul_f16_e32 v119, 0xbbf7, v55
	;; [unrolled: 1-line block ×4, first 2 shown]
	v_fmamk_f16 v147, v58, 0x2de8, v124
	v_fma_f16 v190, v15, 0xbacd, -v132
	v_add_f16_e32 v141, v144, v141
	v_fma_f16 v144, v15, 0xb461, -v158
	v_add_f16_e32 v189, v30, v189
	v_add_f16_e32 v162, v187, v162
	v_fma_f16 v187, v16, 0xbacd, -v176
	v_add_f16_e32 v140, v30, v140
	v_add_f16_e32 v90, v138, v90
	v_fmamk_f16 v138, v58, 0xbbdd, v185
	v_fma_f16 v48, v59, v72, -v89
	v_add_f16_e32 v56, v50, v13
	v_add_f16_e32 v59, v41, v34
	v_mul_f16_e32 v116, 0xb1e1, v54
	v_mul_f16_e32 v179, 0xb836, v23
	;; [unrolled: 1-line block ×4, first 2 shown]
	v_fmamk_f16 v150, v57, 0xbbdd, v123
	v_fma_f16 v152, v16, 0x2de8, -v119
	v_add_f16_e32 v147, v31, v147
	v_add_f16_e32 v189, v190, v189
	v_fma_f16 v190, v15, 0x3722, -v173
	v_add_f16_e32 v187, v30, v187
	v_add_f16_e32 v140, v144, v140
	v_fmamk_f16 v144, v57, 0x3b76, v184
	v_add_f16_e32 v138, v31, v138
	v_mul_f16_sdwa v42, v63, v67 dst_sel:DWORD dst_unused:UNUSED_PAD src0_sel:DWORD src1_sel:WORD_1
	v_mul_f16_sdwa v87, v14, v67 dst_sel:DWORD dst_unused:UNUSED_PAD src0_sel:DWORD src1_sel:WORD_1
	v_mul_f16_e32 v177, 0x3b29, v22
	v_mul_f16_e32 v127, 0x3bb2, v12
	;; [unrolled: 1-line block ×3, first 2 shown]
	v_fma_f16 v154, v15, 0xbbdd, -v116
	v_add_f16_e32 v152, v30, v152
	v_add_f16_e32 v147, v150, v147
	v_fmamk_f16 v150, v58, 0xbacd, v179
	v_add_f16_e32 v187, v190, v187
	v_fma_f16 v190, v59, 0xb8d2, -v81
	v_add_f16_e32 v138, v144, v138
	v_fmamk_f16 v144, v56, 0xbbdd, v111
	v_fmac_f16_e32 v42, v14, v67
	v_fma_f16 v14, v60, v68, -v86
	v_fma_f16 v49, v63, v67, -v87
	v_mul_f16_e32 v89, 0xba62, v12
	v_mul_f16_e32 v131, 0x3964, v53
	v_mul_f16_e32 v167, 0xb5c8, v12
	v_add_f16_e32 v152, v154, v152
	v_fmamk_f16 v154, v57, 0x3722, v177
	v_add_f16_e32 v150, v31, v150
	v_add_f16_e32 v91, v190, v91
	v_fmamk_f16 v190, v56, 0xb461, v127
	v_add_f16_e32 v139, v144, v139
	v_fma_f16 v144, v59, 0xb461, -v115
	v_sub_f16_e32 v61, v42, v35
	v_sub_f16_e32 v66, v49, v14
	v_mul_f16_e32 v99, 0x31e1, v53
	v_mul_f16_e32 v181, 0xbbf7, v12
	;; [unrolled: 1-line block ×3, first 2 shown]
	v_add_f16_e32 v150, v154, v150
	v_fmamk_f16 v154, v56, 0xb8d2, v89
	v_add_f16_e32 v147, v190, v147
	v_fma_f16 v190, v59, 0x39e9, -v131
	v_add_f16_e32 v144, v144, v152
	v_fmamk_f16 v152, v56, 0x3b76, v167
	v_add_f16_e32 v73, v49, v14
	v_add_f16_e32 v60, v42, v35
	v_mul_f16_e32 v148, 0x3964, v12
	v_mul_f16_e32 v95, 0xb1e1, v61
	;; [unrolled: 1-line block ×3, first 2 shown]
	v_add_f16_e32 v88, v154, v88
	v_fma_f16 v154, v59, 0xbbdd, -v99
	v_add_f16_e32 v189, v190, v189
	v_fmamk_f16 v190, v56, 0x2de8, v181
	v_add_f16_e32 v90, v152, v90
	v_fma_f16 v152, v59, 0x2de8, -v170
	v_mul_f16_e32 v155, 0xb5c8, v53
	v_mul_f16_e32 v101, 0x3bb2, v66
	;; [unrolled: 1-line block ×3, first 2 shown]
	v_add_f16_e32 v141, v154, v141
	v_fmamk_f16 v154, v56, 0x39e9, v148
	v_add_f16_e32 v150, v190, v150
	v_fmamk_f16 v190, v73, 0xbbdd, v95
	v_add_f16_e32 v152, v152, v187
	v_fma_f16 v187, v60, 0xbbdd, -v82
	v_mul_f16_e32 v186, 0xb836, v12
	v_mul_f16_e32 v145, 0xbb29, v61
	v_mul_f16_e32 v133, 0xbb29, v66
	v_add_f16_e32 v154, v154, v162
	v_fma_f16 v162, v59, 0x3b76, -v155
	v_add_f16_e32 v88, v190, v88
	v_fma_f16 v190, v60, 0xb461, -v101
	v_add_f16_e32 v91, v187, v91
	v_fmamk_f16 v187, v73, 0x3b76, v125
	v_sub_f16_e32 v63, v43, v36
	v_mul_f16_e32 v109, 0x3bb2, v61
	v_mul_f16_e32 v156, 0xb836, v66
	;; [unrolled: 1-line block ×3, first 2 shown]
	v_add_f16_e32 v140, v162, v140
	v_fmamk_f16 v162, v56, 0xbacd, v186
	v_add_f16_e32 v141, v190, v141
	v_fmamk_f16 v190, v73, 0x3722, v145
	v_add_f16_e32 v147, v187, v147
	v_fma_f16 v187, v60, 0x3722, -v133
	v_add_f16_e32 v75, v48, v20
	v_sub_f16_e32 v69, v48, v20
	v_mul_f16_e32 v117, 0x35c8, v66
	v_mul_f16_e32 v97, 0x3836, v63
	;; [unrolled: 1-line block ×3, first 2 shown]
	v_add_f16_e32 v138, v162, v138
	v_fmamk_f16 v162, v73, 0xb461, v109
	v_add_f16_e32 v154, v190, v154
	v_fma_f16 v190, v60, 0xbacd, -v156
	v_add_f16_e32 v187, v187, v189
	v_fmamk_f16 v189, v73, 0xb8d2, v183
	v_add_f16_e32 v62, v43, v36
	v_mul_f16_e32 v165, 0xb836, v61
	v_mul_f16_e32 v112, 0x3964, v63
	;; [unrolled: 1-line block ×3, first 2 shown]
	v_add_f16_e32 v139, v162, v139
	v_fma_f16 v162, v60, 0x3b76, -v117
	v_add_f16_e32 v140, v190, v140
	v_fmamk_f16 v190, v73, 0x39e9, v188
	v_add_f16_e32 v150, v189, v150
	v_fmamk_f16 v189, v75, 0xbacd, v97
	v_mul_f16_e32 v171, 0x3a62, v66
	v_mul_f16_e32 v121, 0xbb29, v69
	;; [unrolled: 1-line block ×3, first 2 shown]
	v_add_f16_e32 v144, v162, v144
	v_fmamk_f16 v162, v73, 0xbacd, v165
	v_add_f16_e32 v192, v190, v138
	v_fmamk_f16 v138, v75, 0x39e9, v112
	v_add_f16_e32 v88, v189, v88
	v_fma_f16 v189, v62, 0x39e9, -v105
	v_sub_f16_e32 v65, v44, v37
	v_mul_f16_e32 v84, 0x3836, v69
	v_mul_f16_e32 v168, 0x3bf7, v63
	;; [unrolled: 1-line block ×3, first 2 shown]
	v_add_f16_e32 v90, v162, v90
	v_fma_f16 v162, v60, 0xb8d2, -v171
	v_add_f16_e32 v138, v138, v139
	v_fma_f16 v139, v62, 0x3722, -v121
	v_add_f16_e32 v141, v189, v141
	v_fmamk_f16 v189, v75, 0xbbdd, v149
	v_add_f16_e32 v78, v26, v19
	v_sub_f16_e32 v72, v26, v19
	v_mul_f16_e32 v128, 0xbb29, v63
	v_mul_f16_e32 v175, 0xb5c8, v69
	;; [unrolled: 1-line block ×3, first 2 shown]
	v_add_f16_e32 v152, v162, v152
	v_fma_f16 v162, v62, 0xbacd, -v84
	v_add_f16_e32 v139, v139, v144
	v_fmamk_f16 v144, v75, 0x2de8, v168
	v_add_f16_e32 v154, v189, v154
	v_fma_f16 v189, v62, 0x2de8, -v160
	v_add_f16_e32 v64, v44, v37
	v_mul_f16_e32 v137, 0xb1e1, v69
	v_mul_f16_e32 v114, 0xb5c8, v65
	;; [unrolled: 1-line block ×3, first 2 shown]
	v_add_f16_e32 v91, v162, v91
	v_fmamk_f16 v162, v75, 0x3722, v128
	v_add_f16_e32 v90, v144, v90
	v_fma_f16 v144, v62, 0x3b76, -v175
	v_add_f16_e32 v140, v189, v140
	v_fmamk_f16 v189, v78, 0xb461, v98
	v_mul_f16_e32 v180, 0xb5c8, v63
	v_mul_f16_e32 v118, 0xb836, v72
	;; [unrolled: 1-line block ×3, first 2 shown]
	v_add_f16_e32 v147, v162, v147
	v_fma_f16 v162, v62, 0xbbdd, -v137
	v_add_f16_e32 v144, v144, v152
	v_fmamk_f16 v152, v78, 0x3b76, v114
	v_add_f16_e32 v88, v189, v88
	v_fma_f16 v189, v64, 0x3b76, -v102
	v_sub_f16_e32 v68, v46, v40
	v_mul_f16_e32 v86, 0x3bb2, v72
	v_mul_f16_e32 v169, 0xb964, v65
	;; [unrolled: 1-line block ×3, first 2 shown]
	v_add_f16_e32 v162, v162, v187
	v_fmamk_f16 v187, v75, 0x3b76, v180
	v_add_f16_e32 v138, v152, v138
	v_fma_f16 v152, v64, 0xbacd, -v118
	v_add_f16_e32 v141, v189, v141
	v_fmamk_f16 v189, v78, 0x2de8, v151
	v_add_f16_e32 v76, v25, v11
	v_sub_f16_e32 v74, v25, v11
	v_mul_f16_e32 v129, 0xb836, v65
	v_mul_f16_e32 v172, 0xb1e1, v72
	;; [unrolled: 1-line block ×3, first 2 shown]
	v_add_f16_e32 v150, v187, v150
	v_fma_f16 v187, v64, 0xb461, -v86
	v_add_f16_e32 v139, v152, v139
	v_fmamk_f16 v152, v78, 0x39e9, v169
	v_add_f16_e32 v154, v189, v154
	v_fma_f16 v189, v64, 0x39e9, -v157
	v_add_f16_e32 v67, v46, v40
	v_mul_f16_e32 v134, 0x3bf7, v72
	v_mul_f16_e32 v110, 0xbbf7, v68
	;; [unrolled: 1-line block ×3, first 2 shown]
	v_add_f16_e32 v91, v187, v91
	v_fmamk_f16 v187, v78, 0xbacd, v129
	v_add_f16_e32 v90, v152, v90
	v_fma_f16 v152, v64, 0xbbdd, -v172
	v_add_f16_e32 v140, v189, v140
	v_fmamk_f16 v189, v76, 0x3722, v96
	v_mul_f16_e32 v182, 0xb1e1, v65
	v_mul_f16_e32 v120, 0x3a62, v74
	;; [unrolled: 1-line block ×3, first 2 shown]
	v_add_f16_e32 v147, v187, v147
	v_fma_f16 v187, v64, 0x2de8, -v134
	v_add_f16_e32 v144, v152, v144
	v_fmamk_f16 v152, v76, 0x2de8, v110
	v_add_f16_e32 v88, v189, v88
	v_fma_f16 v189, v67, 0x2de8, -v104
	v_sub_f16_e32 v71, v47, v45
	v_sub_f16_e32 v77, v24, v21
	v_mul_f16_e32 v87, 0x3b29, v74
	v_mul_f16_e32 v166, 0xb1e1, v68
	;; [unrolled: 1-line block ×3, first 2 shown]
	v_add_f16_e32 v162, v187, v162
	v_fmamk_f16 v187, v78, 0xbbdd, v182
	v_add_f16_e32 v138, v152, v138
	v_fma_f16 v152, v67, 0xb8d2, -v120
	v_add_f16_e32 v141, v189, v141
	v_fmamk_f16 v189, v76, 0x3b76, v146
	v_add_f16_e32 v79, v24, v21
	v_add_f16_e32 v70, v47, v45
	v_mul_f16_e32 v126, 0x3a62, v68
	v_mul_f16_e32 v174, 0x3964, v74
	;; [unrolled: 1-line block ×4, first 2 shown]
	v_add_f16_e32 v150, v187, v150
	v_fma_f16 v187, v67, 0x3722, -v87
	v_add_f16_e32 v152, v152, v139
	v_fmamk_f16 v139, v76, 0xbbdd, v166
	v_add_f16_e32 v154, v189, v154
	v_fma_f16 v189, v67, 0xbbdd, -v159
	v_mul_f16_e32 v136, 0xb5c8, v74
	v_mul_f16_e32 v113, 0xb836, v71
	;; [unrolled: 1-line block ×4, first 2 shown]
	v_add_f16_e32 v91, v187, v91
	v_fmamk_f16 v187, v76, 0xb8d2, v126
	v_add_f16_e32 v190, v139, v90
	v_fma_f16 v90, v67, 0x39e9, -v174
	v_add_f16_e32 v193, v189, v140
	v_fmamk_f16 v139, v79, 0x3b76, v94
	v_fma_f16 v140, v70, 0x3b76, -v85
	v_mul_f16_e32 v122, 0x3964, v77
	v_mul_f16_e32 v153, 0xba62, v71
	v_add_f16_e32 v147, v187, v147
	v_fma_f16 v187, v67, 0x3b76, -v136
	v_add_f16_e32 v194, v90, v144
	v_fmamk_f16 v144, v79, 0xbacd, v113
	v_add_f16_e32 v88, v139, v88
	v_fma_f16 v139, v70, 0xbacd, -v106
	v_add_f16_e32 v90, v140, v91
	v_fmamk_f16 v140, v79, 0x39e9, v130
	v_mul_f16_e32 v189, 0xba62, v77
	v_add_f16_e32 v162, v187, v162
	v_add_f16_e32 v91, v144, v138
	;; [unrolled: 1-line block ×3, first 2 shown]
	v_fma_f16 v141, v70, 0x39e9, -v122
	v_add_f16_e32 v139, v140, v147
	v_fmamk_f16 v144, v79, 0xb8d2, v153
	v_fma_f16 v147, v70, 0xb8d2, -v189
	v_mul_f16_e32 v191, 0x3b29, v71
	v_fma_f16 v93, v58, 0x39e9, -v93
	v_mul_f16_e32 v178, 0x3964, v68
	v_add_f16_e32 v140, v141, v152
	v_add_f16_e32 v141, v144, v154
	;; [unrolled: 1-line block ×3, first 2 shown]
	v_fmamk_f16 v147, v79, 0x3722, v191
	v_mul_f16_e32 v195, 0xbbb2, v77
	v_add_f16_e32 v93, v31, v93
	v_fma_f16 v92, v57, 0x2de8, -v92
	v_fmamk_f16 v187, v76, 0x39e9, v178
	v_add_f16_e32 v147, v147, v190
	v_mul_f16_e32 v190, 0x3b29, v77
	v_fma_f16 v154, v70, 0xb461, -v195
	v_add_f16_e32 v92, v92, v93
	v_fma_f16 v89, v56, 0xb8d2, -v89
	v_add_f16_e32 v187, v187, v150
	;; [unrolled: 2-line block ×3, first 2 shown]
	v_mul_f16_e32 v194, 0xba62, v63
	v_fmac_f16_e32 v83, 0x39e9, v16
	v_add_f16_e32 v89, v89, v92
	v_fma_f16 v92, v73, 0xbbdd, -v95
	v_add_f16_e32 v150, v150, v193
	v_mul_f16_e32 v193, 0xbbb2, v71
	v_fmamk_f16 v162, v75, 0xb8d2, v194
	v_add_f16_e32 v83, v30, v83
	v_fmac_f16_e32 v80, 0x2de8, v15
	v_add_f16_e32 v89, v92, v89
	v_fma_f16 v92, v75, 0xbacd, -v97
	v_fmamk_f16 v152, v79, 0xb461, v193
	v_add_f16_e32 v162, v162, v192
	v_mul_f16_e32 v192, 0x3b29, v65
	v_fma_f16 v185, v58, 0xbbdd, -v185
	v_fma_f16 v179, v58, 0xbacd, -v179
	;; [unrolled: 1-line block ×6, first 2 shown]
	v_add_f16_e32 v80, v80, v83
	v_fmac_f16_e32 v81, 0xb8d2, v59
	v_add_f16_e32 v83, v92, v89
	v_fma_f16 v89, v78, 0xb461, -v98
	v_mul_f16_e32 v58, 0x3b76, v58
	v_add_f16_e32 v152, v152, v187
	v_fmamk_f16 v187, v78, 0x3722, v192
	v_mul_f16_e32 v196, 0xbbb2, v68
	v_add_f16_e32 v185, v31, v185
	v_fma_f16 v184, v57, 0x3b76, -v184
	v_add_f16_e32 v179, v31, v179
	v_fma_f16 v177, v57, 0x3722, -v177
	;; [unrolled: 2-line block ×6, first 2 shown]
	v_add_f16_e32 v80, v81, v80
	v_fmac_f16_e32 v82, 0xbbdd, v60
	v_add_f16_e32 v81, v89, v83
	v_fma_f16 v83, v76, 0x3722, -v96
	v_fmamk_f16 v89, v23, 0x35c8, v58
	v_mul_f16_e32 v57, 0x39e9, v57
	v_add_f16_e32 v162, v187, v162
	v_fmamk_f16 v187, v76, 0xb461, v196
	v_mul_f16_e32 v197, 0x3bf7, v71
	v_add_f16_e32 v184, v184, v185
	v_fma_f16 v185, v56, 0xbacd, -v186
	v_add_f16_e32 v177, v177, v179
	v_fma_f16 v179, v56, 0x2de8, -v181
	;; [unrolled: 2-line block ×6, first 2 shown]
	v_add_f16_e32 v80, v82, v80
	v_fmac_f16_e32 v84, 0xbacd, v62
	v_add_f16_e32 v81, v83, v81
	v_add_f16_e32 v82, v31, v89
	v_fmamk_f16 v83, v22, 0x3964, v57
	v_mul_f16_e32 v56, 0x3722, v56
	v_add_f16_e32 v162, v187, v162
	v_fmamk_f16 v187, v79, 0x2de8, v197
	v_mul_f16_e32 v198, 0xb1e1, v55
	v_add_f16_e32 v184, v185, v184
	v_fma_f16 v185, v73, 0x39e9, -v188
	v_add_f16_e32 v177, v179, v177
	v_fma_f16 v179, v73, 0xb8d2, -v183
	v_fmac_f16_e32 v161, 0xb8d2, v16
	v_add_f16_e32 v164, v167, v164
	v_fma_f16 v165, v73, 0xbacd, -v165
	v_fmac_f16_e32 v135, 0xb461, v16
	;; [unrolled: 3-line block ×4, first 2 shown]
	v_add_f16_e32 v107, v108, v107
	v_fma_f16 v108, v73, 0xb461, -v109
	v_add_f16_e32 v80, v84, v80
	v_fmac_f16_e32 v86, 0xb461, v64
	v_add_f16_e32 v82, v83, v82
	v_fmamk_f16 v83, v12, 0x3b29, v56
	v_mul_f16_e32 v73, 0x2de8, v73
	v_add_f16_e32 v162, v187, v162
	v_fma_f16 v187, v16, 0xbbdd, -v198
	v_mul_f16_e32 v199, 0x35c8, v54
	v_add_f16_e32 v184, v185, v184
	v_fma_f16 v185, v75, 0xb8d2, -v194
	v_add_f16_e32 v177, v179, v177
	v_fma_f16 v179, v75, 0x3b76, -v180
	v_add_f16_e32 v161, v30, v161
	v_fmac_f16_e32 v158, 0xb461, v15
	v_add_f16_e32 v164, v165, v164
	v_fma_f16 v165, v75, 0x2de8, -v168
	v_add_f16_e32 v135, v30, v135
	v_fmac_f16_e32 v132, 0xbacd, v15
	v_add_f16_e32 v142, v143, v142
	v_fma_f16 v143, v75, 0xbbdd, -v149
	v_add_f16_e32 v119, v30, v119
	v_fmac_f16_e32 v116, 0xbbdd, v15
	v_add_f16_e32 v123, v124, v123
	v_fma_f16 v124, v75, 0x3722, -v128
	v_add_f16_e32 v103, v30, v103
	v_fmac_f16_e32 v100, 0xb8d2, v15
	v_add_f16_e32 v107, v108, v107
	v_fma_f16 v108, v75, 0x39e9, -v112
	v_fma_f16 v84, v79, 0x3b76, -v94
	v_add_f16_e32 v80, v86, v80
	v_fmac_f16_e32 v87, 0x3722, v67
	v_add_f16_e32 v82, v83, v82
	v_fmamk_f16 v83, v61, 0x3bf7, v73
	v_mul_f16_e32 v75, 0xb461, v75
	v_mul_f16_e32 v55, 0xb5c8, v55
	v_add_f16_e32 v38, v30, v38
	v_add_f16_e32 v52, v31, v52
	;; [unrolled: 1-line block ×3, first 2 shown]
	v_fma_f16 v200, v15, 0x3b76, -v199
	v_add_f16_e32 v184, v185, v184
	v_fma_f16 v185, v78, 0x3722, -v192
	v_add_f16_e32 v177, v179, v177
	;; [unrolled: 2-line block ×3, first 2 shown]
	v_add_f16_e32 v161, v165, v164
	v_fma_f16 v164, v78, 0x39e9, -v169
	v_add_f16_e32 v132, v132, v135
	v_add_f16_e32 v135, v143, v142
	v_fma_f16 v142, v78, 0x2de8, -v151
	v_add_f16_e32 v116, v116, v119
	;; [unrolled: 3-line block ×4, first 2 shown]
	v_add_f16_e32 v80, v87, v80
	v_fmac_f16_e32 v85, 0x3b76, v70
	v_add_f16_e32 v82, v83, v82
	v_fmamk_f16 v83, v63, 0x3bb2, v75
	v_mul_f16_e32 v78, 0xb8d2, v78
	v_fmamk_f16 v84, v16, 0x3b76, v55
	v_mul_f16_e32 v54, 0xb964, v54
	v_add_f16_e32 v38, v38, v39
	v_add_f16_e32 v39, v52, v51
	;; [unrolled: 1-line block ×3, first 2 shown]
	v_mul_f16_e32 v200, 0xb836, v53
	v_add_f16_e32 v80, v85, v80
	v_add_f16_e32 v82, v83, v82
	v_fmamk_f16 v83, v65, 0x3a62, v78
	v_add_f16_e32 v84, v30, v84
	v_fmamk_f16 v85, v15, 0x39e9, v54
	v_mul_f16_e32 v53, 0xbb29, v53
	v_add_f16_e32 v38, v38, v41
	v_add_f16_e32 v39, v39, v50
	v_fma_f16 v201, v59, 0xbacd, -v200
	v_add_f16_e32 v82, v83, v82
	v_add_f16_e32 v83, v85, v84
	v_fmamk_f16 v84, v59, 0x3722, v53
	v_mul_f16_e32 v51, 0xbbf7, v66
	v_add_f16_e32 v38, v38, v42
	v_add_f16_e32 v39, v39, v49
	;; [unrolled: 1-line block ×3, first 2 shown]
	v_mul_f16_e32 v201, 0x3964, v66
	v_add_f16_e32 v66, v84, v83
	v_fmamk_f16 v41, v60, 0x2de8, v51
	v_mul_f16_e32 v50, 0xbbb2, v69
	v_add_f16_e32 v38, v38, v43
	v_add_f16_e32 v39, v39, v48
	v_mul_f16_e32 v43, 0xba62, v72
	v_add_f16_e32 v41, v41, v66
	v_fmamk_f16 v42, v62, 0xb461, v50
	v_add_f16_e32 v38, v38, v44
	v_add_f16_e32 v26, v39, v26
	v_fmamk_f16 v39, v64, 0xb8d2, v43
	v_mul_f16_e32 v44, 0xb836, v74
	v_add_f16_e32 v41, v42, v41
	v_add_f16_e32 v38, v38, v46
	;; [unrolled: 1-line block ×3, first 2 shown]
	v_fma_f16 v202, v60, 0x39e9, -v201
	v_add_f16_e32 v184, v185, v184
	v_fma_f16 v185, v76, 0xb461, -v196
	v_add_f16_e32 v26, v39, v41
	v_fmamk_f16 v39, v67, 0xbacd, v44
	v_add_f16_e32 v38, v38, v47
	v_add_f16_e32 v24, v25, v24
	v_fmac_f16_e32 v58, 0xb5c8, v23
	v_add_f16_e32 v187, v202, v187
	v_mul_f16_e32 v202, 0xba62, v69
	v_add_f16_e32 v184, v185, v184
	v_fma_f16 v185, v79, 0x2de8, -v197
	v_fmac_f16_e32 v198, 0xbbdd, v16
	v_fmac_f16_e32 v176, 0xbacd, v16
	v_add_f16_e32 v23, v39, v26
	v_add_f16_e32 v26, v38, v45
	;; [unrolled: 1-line block ×4, first 2 shown]
	v_fmac_f16_e32 v57, 0xb964, v22
	v_fma_f16 v16, v16, 0x3b76, -v55
	v_fma_f16 v203, v62, 0xb8d2, -v202
	v_add_f16_e32 v184, v185, v184
	v_add_f16_e32 v185, v30, v198
	v_fmac_f16_e32 v199, 0x3b76, v15
	v_add_f16_e32 v176, v30, v176
	v_fmac_f16_e32 v173, 0x3722, v15
	v_add_f16_e32 v26, v26, v40
	v_add_f16_e32 v11, v21, v11
	v_fmac_f16_e32 v115, 0xb461, v59
	v_fmac_f16_e32 v99, 0xbbdd, v59
	;; [unrolled: 1-line block ×4, first 2 shown]
	v_add_f16_e32 v21, v57, v24
	v_fmac_f16_e32 v56, 0xbb29, v12
	v_add_f16_e32 v12, v30, v16
	v_fma_f16 v15, v15, 0x39e9, -v54
	v_add_f16_e32 v187, v203, v187
	v_mul_f16_e32 v203, 0x3b29, v72
	v_add_f16_e32 v185, v199, v185
	v_fmac_f16_e32 v200, 0xbacd, v59
	v_add_f16_e32 v176, v173, v176
	v_fmac_f16_e32 v170, 0x2de8, v59
	v_add_f16_e32 v16, v26, v37
	v_add_f16_e32 v11, v11, v19
	;; [unrolled: 1-line block ×3, first 2 shown]
	v_fmac_f16_e32 v117, 0x3b76, v60
	v_add_f16_e32 v99, v99, v100
	v_fmac_f16_e32 v101, 0xb461, v60
	v_add_f16_e32 v155, v155, v158
	v_fmac_f16_e32 v156, 0xbacd, v60
	v_add_f16_e32 v131, v131, v132
	v_fmac_f16_e32 v133, 0x3722, v60
	v_add_f16_e32 v19, v56, v21
	v_fmac_f16_e32 v73, 0xbbf7, v61
	v_add_f16_e32 v12, v15, v12
	v_fma_f16 v15, v59, 0x3722, -v53
	v_fma_f16 v204, v64, 0x3722, -v203
	v_add_f16_e32 v185, v200, v185
	v_fmac_f16_e32 v201, 0x39e9, v60
	v_add_f16_e32 v170, v170, v176
	v_fmac_f16_e32 v171, 0xb8d2, v60
	v_add_f16_e32 v16, v16, v36
	v_add_f16_e32 v11, v11, v20
	;; [unrolled: 1-line block ×3, first 2 shown]
	v_fmac_f16_e32 v121, 0x3722, v62
	v_add_f16_e32 v99, v101, v99
	v_fmac_f16_e32 v105, 0x39e9, v62
	v_add_f16_e32 v155, v156, v155
	;; [unrolled: 2-line block ×5, first 2 shown]
	v_fma_f16 v15, v60, 0x2de8, -v51
	v_add_f16_e32 v187, v204, v187
	v_mul_f16_e32 v204, 0xbbb2, v74
	v_add_f16_e32 v185, v201, v185
	v_fmac_f16_e32 v202, 0xb8d2, v62
	v_add_f16_e32 v170, v171, v170
	v_fmac_f16_e32 v175, 0x3b76, v62
	v_add_f16_e32 v16, v16, v35
	v_add_f16_e32 v11, v11, v14
	v_mul_f16_e32 v52, 0xbacd, v76
	v_add_f16_e32 v111, v121, v115
	v_fmac_f16_e32 v118, 0xbacd, v64
	v_add_f16_e32 v93, v105, v99
	v_fmac_f16_e32 v102, 0x3b76, v64
	;; [unrolled: 2-line block ×5, first 2 shown]
	v_add_f16_e32 v12, v15, v12
	v_fma_f16 v15, v62, 0xb461, -v50
	v_fma_f16 v205, v67, 0xb461, -v204
	v_add_f16_e32 v185, v202, v185
	v_fmac_f16_e32 v203, 0x3722, v64
	v_add_f16_e32 v170, v175, v170
	v_fmac_f16_e32 v172, 0xbbdd, v64
	v_add_f16_e32 v16, v16, v34
	v_add_f16_e32 v11, v11, v13
	v_fmamk_f16 v69, v68, 0x3836, v52
	v_mul_f16_e32 v42, 0xbbdd, v79
	v_mul_f16_e32 v25, 0xb1e1, v77
	v_add_f16_e32 v116, v123, v119
	v_fma_f16 v119, v76, 0xb8d2, -v126
	v_add_f16_e32 v109, v118, v111
	v_fmac_f16_e32 v120, 0xb8d2, v67
	v_add_f16_e32 v100, v107, v103
	v_fma_f16 v103, v76, 0x2de8, -v110
	v_add_f16_e32 v93, v102, v93
	v_fmac_f16_e32 v104, 0x2de8, v67
	;; [unrolled: 4-line block ×4, first 2 shown]
	v_add_f16_e32 v13, v78, v14
	v_add_f16_e32 v12, v15, v12
	v_fma_f16 v14, v64, 0xb8d2, -v43
	v_add_f16_e32 v187, v205, v187
	v_mul_f16_e32 v205, 0x3bf7, v77
	v_add_f16_e32 v185, v203, v185
	v_fmac_f16_e32 v204, 0xb461, v67
	v_add_f16_e32 v176, v179, v177
	v_fma_f16 v177, v76, 0x39e9, -v178
	v_add_f16_e32 v167, v172, v170
	v_fmac_f16_e32 v174, 0x39e9, v67
	v_add_f16_e32 v15, v16, v33
	v_add_f16_e32 v11, v11, v18
	;; [unrolled: 1-line block ×3, first 2 shown]
	v_fmamk_f16 v48, v71, 0x31e1, v42
	v_fmamk_f16 v22, v70, 0xbbdd, v25
	v_add_f16_e32 v116, v119, v116
	v_fma_f16 v117, v79, 0x39e9, -v130
	v_add_f16_e32 v109, v120, v109
	v_fmac_f16_e32 v122, 0x39e9, v70
	v_add_f16_e32 v100, v103, v100
	v_fma_f16 v101, v79, 0xbacd, -v113
	v_add_f16_e32 v93, v104, v93
	v_fmac_f16_e32 v106, 0xbacd, v70
	;; [unrolled: 4-line block ×4, first 2 shown]
	v_fmac_f16_e32 v52, 0xb836, v68
	v_add_f16_e32 v12, v14, v12
	v_fma_f16 v14, v67, 0xbacd, -v44
	v_fma_f16 v206, v70, 0x2de8, -v205
	v_add_f16_e32 v180, v204, v185
	v_fmac_f16_e32 v205, 0x2de8, v70
	v_add_f16_e32 v171, v177, v176
	v_fma_f16 v176, v79, 0xb461, -v193
	v_add_f16_e32 v167, v174, v167
	v_fmac_f16_e32 v195, 0xb461, v70
	v_add_f16_e32 v15, v15, v32
	v_add_f16_e32 v11, v11, v17
	;; [unrolled: 1-line block ×13, first 2 shown]
	v_fmac_f16_e32 v42, 0xb1e1, v71
	v_add_f16_e32 v12, v14, v12
	v_fma_f16 v14, v70, 0xbbdd, -v25
	v_add_f16_e32 v173, v205, v180
	v_add_f16_e32 v163, v176, v171
	;; [unrolled: 1-line block ×3, first 2 shown]
	v_pack_b32_f16 v11, v15, v11
	v_add_f16_e32 v187, v206, v187
	v_pack_b32_f16 v15, v16, v41
	v_pack_b32_f16 v16, v80, v81
	;; [unrolled: 1-line block ×6, first 2 shown]
	v_add_nc_u32_e32 v21, 0x400, v9
	v_add_f16_e32 v13, v42, v13
	v_add_f16_e32 v12, v14, v12
	ds_write_b32 v27, v11
	ds_write2_b32 v9, v15, v16 offset0:52 offset1:104
	ds_write2_b32 v9, v17, v18 offset0:156 offset1:208
	;; [unrolled: 1-line block ×3, first 2 shown]
	v_pack_b32_f16 v11, v165, v163
	v_pack_b32_f16 v14, v173, v184
	;; [unrolled: 1-line block ×4, first 2 shown]
	v_add_nc_u32_e32 v17, 0x600, v9
	v_pack_b32_f16 v18, v150, v147
	v_pack_b32_f16 v19, v144, v141
	v_add_nc_u32_e32 v20, 0x800, v9
	v_pack_b32_f16 v22, v140, v139
	v_pack_b32_f16 v23, v138, v91
	;; [unrolled: 1-line block ×4, first 2 shown]
	v_add_nc_u32_e32 v9, 0xc00, v9
	ds_write2_b32 v21, v11, v14 offset0:108 offset1:160
	ds_write2_b32 v17, v15, v16 offset0:84 offset1:136
	;; [unrolled: 1-line block ×5, first 2 shown]
.LBB0_20:
	s_or_b32 exec_lo, exec_lo, s1
	s_waitcnt lgkmcnt(0)
	s_barrier
	buffer_gl0_inv
	ds_read_b32 v9, v27
	v_sub_nc_u32_e32 v14, v0, v4
	s_add_u32 s1, s12, 0xd9c
	s_addc_u32 s4, s13, 0
	s_mov_b32 s5, exec_lo
                                        ; implicit-def: $vgpr17
                                        ; implicit-def: $vgpr15
                                        ; implicit-def: $vgpr16
                                        ; implicit-def: $vgpr12_vgpr13
	v_cmpx_ne_u32_e32 0, v3
	s_xor_b32 s5, exec_lo, s5
	s_cbranch_execz .LBB0_22
; %bb.21:
	v_mov_b32_e32 v4, 0
	v_lshlrev_b64 v[11:12], 2, v[3:4]
	v_add_co_u32 v11, s0, s1, v11
	v_add_co_ci_u32_e64 v12, s0, s4, v12, s0
	global_load_dword v11, v[11:12], off
	ds_read_b32 v12, v14 offset:3536
	s_waitcnt lgkmcnt(0)
	v_sub_f16_e32 v13, v9, v12
	v_add_f16_sdwa v15, v12, v9 dst_sel:DWORD dst_unused:UNUSED_PAD src0_sel:WORD_1 src1_sel:WORD_1
	v_sub_f16_sdwa v16, v9, v12 dst_sel:DWORD dst_unused:UNUSED_PAD src0_sel:WORD_1 src1_sel:WORD_1
	v_add_f16_e32 v9, v12, v9
	v_mul_f16_e32 v13, 0.5, v13
	v_mul_f16_e32 v12, 0.5, v15
	;; [unrolled: 1-line block ×3, first 2 shown]
	s_waitcnt vmcnt(0)
	v_lshrrev_b32_e32 v17, 16, v11
	v_mul_f16_e32 v16, v17, v13
	v_fma_f16 v18, v12, v17, v15
	v_fma_f16 v17, v12, v17, -v15
	v_fma_f16 v19, 0.5, v9, v16
	v_fma_f16 v9, v9, 0.5, -v16
	v_fma_f16 v16, -v11, v13, v18
	v_fma_f16 v17, -v11, v13, v17
	v_fmac_f16_e32 v19, v11, v12
	v_fma_f16 v15, -v11, v12, v9
	v_mov_b32_e32 v13, v4
	v_mov_b32_e32 v12, v3
                                        ; implicit-def: $vgpr9
	ds_write_b16 v27, v19
.LBB0_22:
	s_andn2_saveexec_b32 s0, s5
	s_cbranch_execz .LBB0_24
; %bb.23:
	ds_read_u16 v4, v0 offset:1770
	v_mov_b32_e32 v12, 0
	s_waitcnt lgkmcnt(1)
	v_add_f16_sdwa v11, v9, v9 dst_sel:DWORD dst_unused:UNUSED_PAD src0_sel:WORD_1 src1_sel:DWORD
	v_sub_f16_sdwa v15, v9, v9 dst_sel:DWORD dst_unused:UNUSED_PAD src0_sel:DWORD src1_sel:WORD_1
	v_mov_b32_e32 v13, 0
	v_mov_b32_e32 v16, 0
	;; [unrolled: 1-line block ×3, first 2 shown]
	s_waitcnt lgkmcnt(0)
	v_xor_b32_e32 v4, 0x8000, v4
	ds_write_b16 v27, v11
	ds_write_b16 v0, v4 offset:1770
.LBB0_24:
	s_or_b32 exec_lo, exec_lo, s0
	s_waitcnt lgkmcnt(0)
	v_mov_b32_e32 v9, 0
	v_perm_b32 v15, v17, v15, 0x5040100
	v_lshlrev_b64 v[18:19], 2, v[8:9]
	v_mov_b32_e32 v11, v9
	v_mov_b32_e32 v8, v9
	v_lshlrev_b64 v[10:11], 2, v[10:11]
	v_add_co_u32 v18, s0, s1, v18
	v_add_co_ci_u32_e64 v19, s0, s4, v19, s0
	v_lshlrev_b64 v[8:9], 2, v[7:8]
	v_add_co_u32 v10, s0, s1, v10
	global_load_dword v4, v[18:19], off
	v_add_co_ci_u32_e64 v11, s0, s4, v11, s0
	v_add_co_u32 v8, s0, s1, v8
	v_add_co_ci_u32_e64 v9, s0, s4, v9, s0
	global_load_dword v10, v[10:11], off
	v_lshl_add_u32 v7, v7, 2, v0
	global_load_dword v11, v[8:9], off
	v_lshlrev_b64 v[8:9], 2, v[12:13]
	v_add_co_u32 v8, s0, s1, v8
	v_add_co_ci_u32_e64 v9, s0, s4, v9, s0
	s_clause 0x1
	global_load_dword v12, v[8:9], off offset:1088
	global_load_dword v13, v[8:9], off offset:1360
	ds_write_b16 v27, v16 offset:2
	ds_write_b32 v14, v15 offset:3536
	ds_read_b32 v16, v14 offset:3264
	ds_read_b32 v15, v29
	s_mov_b32 s1, exec_lo
	s_waitcnt lgkmcnt(0)
	v_pk_add_f16 v17, v15, v16 neg_lo:[0,1] neg_hi:[0,1]
	v_pk_add_f16 v15, v15, v16
	v_bfi_b32 v16, 0xffff, v17, v15
	v_bfi_b32 v15, 0xffff, v15, v17
	v_pk_mul_f16 v16, v16, 0.5 op_sel_hi:[1,0]
	v_pk_mul_f16 v15, v15, 0.5 op_sel_hi:[1,0]
	s_waitcnt vmcnt(4)
	v_pk_fma_f16 v17, v4, v16, v15 op_sel:[1,0,0]
	v_pk_mul_f16 v18, v4, v16 op_sel_hi:[0,1]
	v_pk_fma_f16 v19, v4, v16, v15 op_sel:[1,0,0] neg_lo:[1,0,0] neg_hi:[1,0,0]
	v_pk_fma_f16 v4, v4, v16, v15 op_sel:[1,0,0] neg_lo:[0,0,1] neg_hi:[0,0,1]
	v_pk_add_f16 v15, v17, v18 op_sel:[0,1] op_sel_hi:[1,0]
	v_pk_add_f16 v16, v17, v18 op_sel:[0,1] op_sel_hi:[1,0] neg_lo:[0,1] neg_hi:[0,1]
	v_pk_add_f16 v17, v19, v18 op_sel:[0,1] op_sel_hi:[1,0] neg_lo:[0,1] neg_hi:[0,1]
	;; [unrolled: 1-line block ×3, first 2 shown]
	v_bfi_b32 v15, 0xffff, v15, v16
	v_bfi_b32 v4, 0xffff, v17, v4
	ds_write_b32 v29, v15
	ds_write_b32 v14, v4 offset:3264
	ds_read_b32 v4, v28
	ds_read_b32 v15, v14 offset:2992
	s_waitcnt lgkmcnt(0)
	v_pk_add_f16 v16, v4, v15 neg_lo:[0,1] neg_hi:[0,1]
	v_pk_add_f16 v4, v4, v15
	v_bfi_b32 v15, 0xffff, v16, v4
	v_bfi_b32 v4, 0xffff, v4, v16
	v_pk_mul_f16 v15, v15, 0.5 op_sel_hi:[1,0]
	v_pk_mul_f16 v4, v4, 0.5 op_sel_hi:[1,0]
	s_waitcnt vmcnt(3)
	v_pk_mul_f16 v17, v10, v15 op_sel_hi:[0,1]
	v_pk_fma_f16 v16, v10, v15, v4 op_sel:[1,0,0]
	v_pk_fma_f16 v18, v10, v15, v4 op_sel:[1,0,0] neg_lo:[1,0,0] neg_hi:[1,0,0]
	v_pk_fma_f16 v4, v10, v15, v4 op_sel:[1,0,0] neg_lo:[0,0,1] neg_hi:[0,0,1]
	v_pk_add_f16 v10, v16, v17 op_sel:[0,1] op_sel_hi:[1,0]
	v_pk_add_f16 v15, v16, v17 op_sel:[0,1] op_sel_hi:[1,0] neg_lo:[0,1] neg_hi:[0,1]
	v_pk_add_f16 v16, v18, v17 op_sel:[0,1] op_sel_hi:[1,0] neg_lo:[0,1] neg_hi:[0,1]
	;; [unrolled: 1-line block ×3, first 2 shown]
	v_bfi_b32 v10, 0xffff, v10, v15
	v_bfi_b32 v4, 0xffff, v16, v4
	ds_write_b32 v28, v10
	ds_write_b32 v14, v4 offset:2992
	ds_read_b32 v4, v7
	ds_read_b32 v10, v14 offset:2720
	s_waitcnt lgkmcnt(0)
	v_pk_add_f16 v15, v4, v10 neg_lo:[0,1] neg_hi:[0,1]
	v_pk_add_f16 v4, v4, v10
	v_bfi_b32 v10, 0xffff, v15, v4
	v_bfi_b32 v4, 0xffff, v4, v15
	v_pk_mul_f16 v10, v10, 0.5 op_sel_hi:[1,0]
	v_pk_mul_f16 v4, v4, 0.5 op_sel_hi:[1,0]
	s_waitcnt vmcnt(2)
	v_pk_mul_f16 v16, v11, v10 op_sel_hi:[0,1]
	v_pk_fma_f16 v15, v11, v10, v4 op_sel:[1,0,0]
	v_pk_fma_f16 v17, v11, v10, v4 op_sel:[1,0,0] neg_lo:[1,0,0] neg_hi:[1,0,0]
	v_pk_fma_f16 v4, v11, v10, v4 op_sel:[1,0,0] neg_lo:[0,0,1] neg_hi:[0,0,1]
	v_pk_add_f16 v10, v15, v16 op_sel:[0,1] op_sel_hi:[1,0]
	v_pk_add_f16 v11, v15, v16 op_sel:[0,1] op_sel_hi:[1,0] neg_lo:[0,1] neg_hi:[0,1]
	v_pk_add_f16 v15, v17, v16 op_sel:[0,1] op_sel_hi:[1,0] neg_lo:[0,1] neg_hi:[0,1]
	;; [unrolled: 1-line block ×3, first 2 shown]
	v_bfi_b32 v10, 0xffff, v10, v11
	v_bfi_b32 v4, 0xffff, v15, v4
	ds_write_b32 v7, v10
	ds_write_b32 v14, v4 offset:2720
	ds_read_b32 v4, v27 offset:1088
	ds_read_b32 v7, v14 offset:2448
	s_waitcnt lgkmcnt(0)
	v_pk_add_f16 v10, v4, v7 neg_lo:[0,1] neg_hi:[0,1]
	v_pk_add_f16 v4, v4, v7
	v_bfi_b32 v7, 0xffff, v10, v4
	v_bfi_b32 v4, 0xffff, v4, v10
	v_pk_mul_f16 v7, v7, 0.5 op_sel_hi:[1,0]
	v_pk_mul_f16 v4, v4, 0.5 op_sel_hi:[1,0]
	s_waitcnt vmcnt(1)
	v_pk_mul_f16 v11, v12, v7 op_sel_hi:[0,1]
	v_pk_fma_f16 v10, v12, v7, v4 op_sel:[1,0,0]
	v_pk_fma_f16 v15, v12, v7, v4 op_sel:[1,0,0] neg_lo:[1,0,0] neg_hi:[1,0,0]
	v_pk_fma_f16 v4, v12, v7, v4 op_sel:[1,0,0] neg_lo:[0,0,1] neg_hi:[0,0,1]
	v_pk_add_f16 v7, v10, v11 op_sel:[0,1] op_sel_hi:[1,0]
	v_pk_add_f16 v10, v10, v11 op_sel:[0,1] op_sel_hi:[1,0] neg_lo:[0,1] neg_hi:[0,1]
	v_pk_add_f16 v12, v15, v11 op_sel:[0,1] op_sel_hi:[1,0] neg_lo:[0,1] neg_hi:[0,1]
	;; [unrolled: 1-line block ×3, first 2 shown]
	v_bfi_b32 v7, 0xffff, v7, v10
	v_bfi_b32 v4, 0xffff, v12, v4
	ds_write_b32 v27, v7 offset:1088
	ds_write_b32 v14, v4 offset:2448
	ds_read_b32 v4, v27 offset:1360
	ds_read_b32 v7, v14 offset:2176
	s_waitcnt lgkmcnt(0)
	v_pk_add_f16 v10, v4, v7 neg_lo:[0,1] neg_hi:[0,1]
	v_pk_add_f16 v4, v4, v7
	v_bfi_b32 v7, 0xffff, v10, v4
	v_bfi_b32 v4, 0xffff, v4, v10
	v_pk_mul_f16 v7, v7, 0.5 op_sel_hi:[1,0]
	v_pk_mul_f16 v4, v4, 0.5 op_sel_hi:[1,0]
	s_waitcnt vmcnt(0)
	v_pk_mul_f16 v11, v13, v7 op_sel_hi:[0,1]
	v_pk_fma_f16 v10, v13, v7, v4 op_sel:[1,0,0]
	v_pk_fma_f16 v12, v13, v7, v4 op_sel:[1,0,0] neg_lo:[1,0,0] neg_hi:[1,0,0]
	v_pk_fma_f16 v4, v13, v7, v4 op_sel:[1,0,0] neg_lo:[0,0,1] neg_hi:[0,0,1]
	v_pk_add_f16 v7, v10, v11 op_sel:[0,1] op_sel_hi:[1,0]
	v_pk_add_f16 v10, v10, v11 op_sel:[0,1] op_sel_hi:[1,0] neg_lo:[0,1] neg_hi:[0,1]
	v_pk_add_f16 v12, v12, v11 op_sel:[0,1] op_sel_hi:[1,0] neg_lo:[0,1] neg_hi:[0,1]
	;; [unrolled: 1-line block ×3, first 2 shown]
	v_bfi_b32 v7, 0xffff, v7, v10
	v_bfi_b32 v4, 0xffff, v12, v4
	ds_write_b32 v27, v7 offset:1360
	ds_write_b32 v14, v4 offset:2176
	v_cmpx_gt_u32_e32 34, v3
	s_cbranch_execz .LBB0_26
; %bb.25:
	global_load_dword v4, v[8:9], off offset:1632
	ds_read_b32 v7, v27 offset:1632
	ds_read_b32 v8, v14 offset:1904
	s_waitcnt lgkmcnt(0)
	v_pk_add_f16 v9, v7, v8 neg_lo:[0,1] neg_hi:[0,1]
	v_pk_add_f16 v7, v7, v8
	v_bfi_b32 v8, 0xffff, v9, v7
	v_bfi_b32 v7, 0xffff, v7, v9
	v_pk_mul_f16 v8, v8, 0.5 op_sel_hi:[1,0]
	v_pk_mul_f16 v7, v7, 0.5 op_sel_hi:[1,0]
	s_waitcnt vmcnt(0)
	v_pk_fma_f16 v9, v4, v8, v7 op_sel:[1,0,0]
	v_pk_mul_f16 v10, v4, v8 op_sel_hi:[0,1]
	v_pk_fma_f16 v11, v4, v8, v7 op_sel:[1,0,0] neg_lo:[1,0,0] neg_hi:[1,0,0]
	v_pk_fma_f16 v4, v4, v8, v7 op_sel:[1,0,0] neg_lo:[0,0,1] neg_hi:[0,0,1]
	v_pk_add_f16 v7, v9, v10 op_sel:[0,1] op_sel_hi:[1,0]
	v_pk_add_f16 v8, v9, v10 op_sel:[0,1] op_sel_hi:[1,0] neg_lo:[0,1] neg_hi:[0,1]
	v_pk_add_f16 v9, v11, v10 op_sel:[0,1] op_sel_hi:[1,0] neg_lo:[0,1] neg_hi:[0,1]
	;; [unrolled: 1-line block ×3, first 2 shown]
	v_bfi_b32 v7, 0xffff, v7, v8
	v_bfi_b32 v4, 0xffff, v9, v4
	ds_write_b32 v27, v7 offset:1632
	ds_write_b32 v14, v4 offset:1904
.LBB0_26:
	s_or_b32 exec_lo, exec_lo, s1
	s_waitcnt lgkmcnt(0)
	s_barrier
	buffer_gl0_inv
	s_and_saveexec_b32 s0, vcc_lo
	s_cbranch_execz .LBB0_29
; %bb.27:
	v_mul_lo_u32 v7, s3, v5
	v_mul_lo_u32 v8, s2, v6
	v_mad_u64_u32 v[5:6], null, s2, v5, 0
	v_lshl_add_u32 v0, v3, 2, v0
	v_mov_b32_e32 v4, 0
	v_lshlrev_b64 v[1:2], 2, v[1:2]
	v_add_nc_u32_e32 v9, 0x88, v3
	v_add_nc_u32_e32 v11, 0xcc, v3
	ds_read2_b32 v[13:14], v0 offset1:68
	v_add3_u32 v6, v6, v8, v7
	v_lshlrev_b64 v[15:16], 2, v[3:4]
	v_add_nc_u32_e32 v7, 0x44, v3
	v_mov_b32_e32 v8, v4
	v_mov_b32_e32 v10, v4
	v_lshlrev_b64 v[5:6], 2, v[5:6]
	v_mov_b32_e32 v12, v4
	v_add_nc_u32_e32 v19, 0x154, v3
	v_mov_b32_e32 v20, v4
	v_lshlrev_b64 v[9:10], 2, v[9:10]
	v_add_co_u32 v5, vcc_lo, s10, v5
	v_add_co_ci_u32_e32 v6, vcc_lo, s11, v6, vcc_lo
	v_lshlrev_b64 v[11:12], 2, v[11:12]
	v_add_co_u32 v1, vcc_lo, v5, v1
	v_add_co_ci_u32_e32 v2, vcc_lo, v6, v2, vcc_lo
	;; [unrolled: 3-line block ×3, first 2 shown]
	v_add_nc_u32_e32 v15, 0x110, v3
	v_mov_b32_e32 v16, v4
	v_add_co_u32 v5, vcc_lo, v1, v5
	s_waitcnt lgkmcnt(0)
	global_store_dword v[7:8], v13, off
	v_add_nc_u32_e32 v13, 0x400, v0
	ds_read2_b32 v[7:8], v0 offset0:136 offset1:204
	v_add_co_ci_u32_e32 v6, vcc_lo, v2, v6, vcc_lo
	v_add_co_u32 v9, vcc_lo, v1, v9
	ds_read2_b32 v[17:18], v13 offset0:16 offset1:84
	v_lshlrev_b64 v[15:16], 2, v[15:16]
	v_add_co_ci_u32_e32 v10, vcc_lo, v2, v10, vcc_lo
	v_add_co_u32 v11, vcc_lo, v1, v11
	v_add_co_ci_u32_e32 v12, vcc_lo, v2, v12, vcc_lo
	v_add_co_u32 v15, vcc_lo, v1, v15
	v_add_co_ci_u32_e32 v16, vcc_lo, v2, v16, vcc_lo
	global_store_dword v[5:6], v14, off
	s_waitcnt lgkmcnt(1)
	global_store_dword v[9:10], v7, off
	global_store_dword v[11:12], v8, off
	s_waitcnt lgkmcnt(0)
	global_store_dword v[15:16], v17, off
	v_add_nc_u32_e32 v17, 0x800, v0
	v_add_nc_u32_e32 v7, 0x198, v3
	v_mov_b32_e32 v8, v4
	v_lshlrev_b64 v[5:6], 2, v[19:20]
	ds_read2_b32 v[11:12], v13 offset0:152 offset1:220
	v_add_nc_u32_e32 v9, 0x1dc, v3
	v_mov_b32_e32 v10, v4
	ds_read2_b32 v[15:16], v17 offset0:32 offset1:100
	v_lshlrev_b64 v[7:8], 2, v[7:8]
	v_add_nc_u32_e32 v13, 0x220, v3
	v_mov_b32_e32 v14, v4
	v_add_co_u32 v5, vcc_lo, v1, v5
	v_lshlrev_b64 v[9:10], 2, v[9:10]
	v_add_co_ci_u32_e32 v6, vcc_lo, v2, v6, vcc_lo
	v_add_co_u32 v7, vcc_lo, v1, v7
	v_lshlrev_b64 v[13:14], 2, v[13:14]
	v_add_co_ci_u32_e32 v8, vcc_lo, v2, v8, vcc_lo
	v_add_co_u32 v9, vcc_lo, v1, v9
	v_add_co_ci_u32_e32 v10, vcc_lo, v2, v10, vcc_lo
	v_add_co_u32 v13, vcc_lo, v1, v13
	v_add_nc_u32_e32 v19, 0x264, v3
	v_add_co_ci_u32_e32 v14, vcc_lo, v2, v14, vcc_lo
	global_store_dword v[5:6], v18, off
	s_waitcnt lgkmcnt(1)
	global_store_dword v[7:8], v11, off
	global_store_dword v[9:10], v12, off
	s_waitcnt lgkmcnt(0)
	global_store_dword v[13:14], v15, off
	v_add_nc_u32_e32 v7, 0x2a8, v3
	v_mov_b32_e32 v8, v4
	v_lshlrev_b64 v[5:6], 2, v[19:20]
	v_add_nc_u32_e32 v9, 0x2ec, v3
	v_mov_b32_e32 v10, v4
	ds_read2_b32 v[11:12], v17 offset0:168 offset1:236
	v_lshlrev_b64 v[7:8], 2, v[7:8]
	v_add_nc_u32_e32 v13, 0x330, v3
	v_mov_b32_e32 v14, v4
	v_add_co_u32 v5, vcc_lo, v1, v5
	v_lshlrev_b64 v[9:10], 2, v[9:10]
	ds_read_b32 v15, v0 offset:3264
	v_add_co_ci_u32_e32 v6, vcc_lo, v2, v6, vcc_lo
	v_add_co_u32 v7, vcc_lo, v1, v7
	v_lshlrev_b64 v[13:14], 2, v[13:14]
	v_add_co_ci_u32_e32 v8, vcc_lo, v2, v8, vcc_lo
	v_add_co_u32 v9, vcc_lo, v1, v9
	v_add_co_ci_u32_e32 v10, vcc_lo, v2, v10, vcc_lo
	v_add_co_u32 v13, vcc_lo, v1, v13
	v_add_co_ci_u32_e32 v14, vcc_lo, v2, v14, vcc_lo
	v_cmp_eq_u32_e32 vcc_lo, 0x43, v3
	global_store_dword v[5:6], v16, off
	s_waitcnt lgkmcnt(1)
	global_store_dword v[7:8], v11, off
	global_store_dword v[9:10], v12, off
	s_waitcnt lgkmcnt(0)
	global_store_dword v[13:14], v15, off
	s_and_b32 exec_lo, exec_lo, vcc_lo
	s_cbranch_execz .LBB0_29
; %bb.28:
	ds_read_b32 v3, v0 offset:3268
	v_add_co_u32 v0, vcc_lo, 0x800, v1
	v_add_co_ci_u32_e32 v1, vcc_lo, 0, v2, vcc_lo
	s_waitcnt lgkmcnt(0)
	global_store_dword v[0:1], v3, off offset:1488
.LBB0_29:
	s_endpgm
	.section	.rodata,"a",@progbits
	.p2align	6, 0x0
	.amdhsa_kernel fft_rtc_back_len884_factors_13_4_17_wgs_204_tpt_68_halfLds_half_op_CI_CI_unitstride_sbrr_R2C_dirReg
		.amdhsa_group_segment_fixed_size 0
		.amdhsa_private_segment_fixed_size 0
		.amdhsa_kernarg_size 104
		.amdhsa_user_sgpr_count 6
		.amdhsa_user_sgpr_private_segment_buffer 1
		.amdhsa_user_sgpr_dispatch_ptr 0
		.amdhsa_user_sgpr_queue_ptr 0
		.amdhsa_user_sgpr_kernarg_segment_ptr 1
		.amdhsa_user_sgpr_dispatch_id 0
		.amdhsa_user_sgpr_flat_scratch_init 0
		.amdhsa_user_sgpr_private_segment_size 0
		.amdhsa_wavefront_size32 1
		.amdhsa_uses_dynamic_stack 0
		.amdhsa_system_sgpr_private_segment_wavefront_offset 0
		.amdhsa_system_sgpr_workgroup_id_x 1
		.amdhsa_system_sgpr_workgroup_id_y 0
		.amdhsa_system_sgpr_workgroup_id_z 0
		.amdhsa_system_sgpr_workgroup_info 0
		.amdhsa_system_vgpr_workitem_id 0
		.amdhsa_next_free_vgpr 207
		.amdhsa_next_free_sgpr 27
		.amdhsa_reserve_vcc 1
		.amdhsa_reserve_flat_scratch 0
		.amdhsa_float_round_mode_32 0
		.amdhsa_float_round_mode_16_64 0
		.amdhsa_float_denorm_mode_32 3
		.amdhsa_float_denorm_mode_16_64 3
		.amdhsa_dx10_clamp 1
		.amdhsa_ieee_mode 1
		.amdhsa_fp16_overflow 0
		.amdhsa_workgroup_processor_mode 1
		.amdhsa_memory_ordered 1
		.amdhsa_forward_progress 0
		.amdhsa_shared_vgpr_count 0
		.amdhsa_exception_fp_ieee_invalid_op 0
		.amdhsa_exception_fp_denorm_src 0
		.amdhsa_exception_fp_ieee_div_zero 0
		.amdhsa_exception_fp_ieee_overflow 0
		.amdhsa_exception_fp_ieee_underflow 0
		.amdhsa_exception_fp_ieee_inexact 0
		.amdhsa_exception_int_div_zero 0
	.end_amdhsa_kernel
	.text
.Lfunc_end0:
	.size	fft_rtc_back_len884_factors_13_4_17_wgs_204_tpt_68_halfLds_half_op_CI_CI_unitstride_sbrr_R2C_dirReg, .Lfunc_end0-fft_rtc_back_len884_factors_13_4_17_wgs_204_tpt_68_halfLds_half_op_CI_CI_unitstride_sbrr_R2C_dirReg
                                        ; -- End function
	.section	.AMDGPU.csdata,"",@progbits
; Kernel info:
; codeLenInByte = 14760
; NumSgprs: 29
; NumVgprs: 207
; ScratchSize: 0
; MemoryBound: 0
; FloatMode: 240
; IeeeMode: 1
; LDSByteSize: 0 bytes/workgroup (compile time only)
; SGPRBlocks: 3
; VGPRBlocks: 25
; NumSGPRsForWavesPerEU: 29
; NumVGPRsForWavesPerEU: 207
; Occupancy: 4
; WaveLimiterHint : 1
; COMPUTE_PGM_RSRC2:SCRATCH_EN: 0
; COMPUTE_PGM_RSRC2:USER_SGPR: 6
; COMPUTE_PGM_RSRC2:TRAP_HANDLER: 0
; COMPUTE_PGM_RSRC2:TGID_X_EN: 1
; COMPUTE_PGM_RSRC2:TGID_Y_EN: 0
; COMPUTE_PGM_RSRC2:TGID_Z_EN: 0
; COMPUTE_PGM_RSRC2:TIDIG_COMP_CNT: 0
	.text
	.p2alignl 6, 3214868480
	.fill 48, 4, 3214868480
	.type	__hip_cuid_7d104c2aade7e8ac,@object ; @__hip_cuid_7d104c2aade7e8ac
	.section	.bss,"aw",@nobits
	.globl	__hip_cuid_7d104c2aade7e8ac
__hip_cuid_7d104c2aade7e8ac:
	.byte	0                               ; 0x0
	.size	__hip_cuid_7d104c2aade7e8ac, 1

	.ident	"AMD clang version 19.0.0git (https://github.com/RadeonOpenCompute/llvm-project roc-6.4.0 25133 c7fe45cf4b819c5991fe208aaa96edf142730f1d)"
	.section	".note.GNU-stack","",@progbits
	.addrsig
	.addrsig_sym __hip_cuid_7d104c2aade7e8ac
	.amdgpu_metadata
---
amdhsa.kernels:
  - .args:
      - .actual_access:  read_only
        .address_space:  global
        .offset:         0
        .size:           8
        .value_kind:     global_buffer
      - .offset:         8
        .size:           8
        .value_kind:     by_value
      - .actual_access:  read_only
        .address_space:  global
        .offset:         16
        .size:           8
        .value_kind:     global_buffer
      - .actual_access:  read_only
        .address_space:  global
        .offset:         24
        .size:           8
        .value_kind:     global_buffer
      - .actual_access:  read_only
        .address_space:  global
        .offset:         32
        .size:           8
        .value_kind:     global_buffer
      - .offset:         40
        .size:           8
        .value_kind:     by_value
      - .actual_access:  read_only
        .address_space:  global
        .offset:         48
        .size:           8
        .value_kind:     global_buffer
      - .actual_access:  read_only
        .address_space:  global
        .offset:         56
        .size:           8
        .value_kind:     global_buffer
      - .offset:         64
        .size:           4
        .value_kind:     by_value
      - .actual_access:  read_only
        .address_space:  global
        .offset:         72
        .size:           8
        .value_kind:     global_buffer
      - .actual_access:  read_only
        .address_space:  global
        .offset:         80
        .size:           8
        .value_kind:     global_buffer
      - .actual_access:  read_only
        .address_space:  global
        .offset:         88
        .size:           8
        .value_kind:     global_buffer
      - .actual_access:  write_only
        .address_space:  global
        .offset:         96
        .size:           8
        .value_kind:     global_buffer
    .group_segment_fixed_size: 0
    .kernarg_segment_align: 8
    .kernarg_segment_size: 104
    .language:       OpenCL C
    .language_version:
      - 2
      - 0
    .max_flat_workgroup_size: 204
    .name:           fft_rtc_back_len884_factors_13_4_17_wgs_204_tpt_68_halfLds_half_op_CI_CI_unitstride_sbrr_R2C_dirReg
    .private_segment_fixed_size: 0
    .sgpr_count:     29
    .sgpr_spill_count: 0
    .symbol:         fft_rtc_back_len884_factors_13_4_17_wgs_204_tpt_68_halfLds_half_op_CI_CI_unitstride_sbrr_R2C_dirReg.kd
    .uniform_work_group_size: 1
    .uses_dynamic_stack: false
    .vgpr_count:     207
    .vgpr_spill_count: 0
    .wavefront_size: 32
    .workgroup_processor_mode: 1
amdhsa.target:   amdgcn-amd-amdhsa--gfx1030
amdhsa.version:
  - 1
  - 2
...

	.end_amdgpu_metadata
